;; amdgpu-corpus repo=ROCm/rocFFT kind=compiled arch=gfx1201 opt=O3
	.text
	.amdgcn_target "amdgcn-amd-amdhsa--gfx1201"
	.amdhsa_code_object_version 6
	.protected	bluestein_single_back_len1092_dim1_sp_op_CI_CI ; -- Begin function bluestein_single_back_len1092_dim1_sp_op_CI_CI
	.globl	bluestein_single_back_len1092_dim1_sp_op_CI_CI
	.p2align	8
	.type	bluestein_single_back_len1092_dim1_sp_op_CI_CI,@function
bluestein_single_back_len1092_dim1_sp_op_CI_CI: ; @bluestein_single_back_len1092_dim1_sp_op_CI_CI
; %bb.0:
	s_load_b128 s[8:11], s[0:1], 0x28
	v_mul_u32_u24_e32 v1, 0x4ed, v0
	s_mov_b32 s2, exec_lo
	v_mov_b32_e32 v155, 0
	s_delay_alu instid0(VALU_DEP_2) | instskip(NEXT) | instid1(VALU_DEP_1)
	v_lshrrev_b32_e32 v1, 16, v1
	v_add_nc_u32_e32 v154, ttmp9, v1
	s_wait_kmcnt 0x0
	s_delay_alu instid0(VALU_DEP_1)
	v_cmpx_gt_u64_e64 s[8:9], v[154:155]
	s_cbranch_execz .LBB0_31
; %bb.1:
	s_clause 0x1
	s_load_b128 s[4:7], s[0:1], 0x18
	s_load_b64 s[16:17], s[0:1], 0x0
	v_mul_lo_u16 v1, v1, 52
	s_movk_i32 s2, 0xfe12
	s_mov_b32 s3, -1
	s_delay_alu instid0(VALU_DEP_1) | instskip(NEXT) | instid1(VALU_DEP_1)
	v_sub_nc_u16 v50, v0, v1
	v_and_b32_e32 v178, 0xffff, v50
	s_wait_kmcnt 0x0
	s_load_b128 s[12:15], s[4:5], 0x0
	s_wait_kmcnt 0x0
	v_mad_co_u64_u32 v[0:1], null, s14, v154, 0
	v_mad_co_u64_u32 v[2:3], null, s12, v178, 0
	s_mul_u64 s[4:5], s[12:13], 0x222
	s_mul_u64 s[2:3], s[12:13], s[2:3]
	s_delay_alu instid0(SALU_CYCLE_1) | instskip(NEXT) | instid1(VALU_DEP_1)
	s_lshl_b64 s[2:3], s[2:3], 3
	v_mad_co_u64_u32 v[4:5], null, s15, v154, v[1:2]
	s_delay_alu instid0(VALU_DEP_1) | instskip(NEXT) | instid1(VALU_DEP_3)
	v_mov_b32_e32 v1, v4
	v_mad_co_u64_u32 v[5:6], null, s13, v178, v[3:4]
	v_lshlrev_b32_e32 v177, 3, v178
	s_clause 0x1
	global_load_b64 v[161:162], v177, s[16:17] offset:4368
	global_load_b64 v[165:166], v177, s[16:17] offset:4784
	v_mov_b32_e32 v3, v5
	v_lshlrev_b64_e32 v[0:1], 3, v[0:1]
	s_clause 0xc
	global_load_b64 v[171:172], v177, s[16:17]
	global_load_b64 v[169:170], v177, s[16:17] offset:416
	global_load_b64 v[167:168], v177, s[16:17] offset:832
	;; [unrolled: 1-line block ×12, first 2 shown]
	v_lshlrev_b64_e32 v[2:3], 3, v[2:3]
	s_clause 0x2
	global_load_b64 v[142:143], v177, s[16:17] offset:6864
	global_load_b64 v[140:141], v177, s[16:17] offset:7280
	;; [unrolled: 1-line block ×3, first 2 shown]
	v_add_co_u32 v0, vcc_lo, s10, v0
	v_add_co_ci_u32_e32 v1, vcc_lo, s11, v1, vcc_lo
	s_lshl_b64 s[10:11], s[4:5], 3
	s_delay_alu instid0(VALU_DEP_2) | instskip(SKIP_1) | instid1(VALU_DEP_2)
	v_add_co_u32 v0, vcc_lo, v0, v2
	s_wait_alu 0xfffd
	v_add_co_ci_u32_e32 v1, vcc_lo, v1, v3, vcc_lo
	s_wait_alu 0xfffe
	s_delay_alu instid0(VALU_DEP_2)
	v_add_co_u32 v2, vcc_lo, v0, s10
	global_load_b64 v[8:9], v[0:1], off
	s_wait_alu 0xfffd
	v_add_co_ci_u32_e32 v3, vcc_lo, s11, v1, vcc_lo
	v_add_co_u32 v4, vcc_lo, v2, s2
	s_wait_alu 0xfffd
	s_delay_alu instid0(VALU_DEP_2) | instskip(NEXT) | instid1(VALU_DEP_2)
	v_add_co_ci_u32_e32 v5, vcc_lo, s3, v3, vcc_lo
	v_add_co_u32 v6, vcc_lo, v4, s10
	s_wait_alu 0xfffd
	s_delay_alu instid0(VALU_DEP_2) | instskip(NEXT) | instid1(VALU_DEP_2)
	v_add_co_ci_u32_e32 v7, vcc_lo, s11, v5, vcc_lo
	v_add_co_u32 v0, vcc_lo, v6, s2
	s_wait_alu 0xfffd
	s_delay_alu instid0(VALU_DEP_2)
	v_add_co_ci_u32_e32 v1, vcc_lo, s3, v7, vcc_lo
	s_clause 0x2
	global_load_b64 v[10:11], v[2:3], off
	global_load_b64 v[12:13], v[4:5], off
	global_load_b64 v[6:7], v[6:7], off
	v_add_co_u32 v2, vcc_lo, v0, s10
	s_wait_alu 0xfffd
	v_add_co_ci_u32_e32 v3, vcc_lo, s11, v1, vcc_lo
	global_load_b64 v[14:15], v[0:1], off
	v_add_co_u32 v0, vcc_lo, v2, s2
	s_wait_alu 0xfffd
	v_add_co_ci_u32_e32 v1, vcc_lo, s3, v3, vcc_lo
	global_load_b64 v[16:17], v[2:3], off
	;; [unrolled: 4-line block ×14, first 2 shown]
	v_add_co_u32 v0, vcc_lo, v4, s10
	s_wait_alu 0xfffd
	v_add_co_ci_u32_e32 v1, vcc_lo, s11, v5, vcc_lo
	v_cmp_gt_u16_e32 vcc_lo, 26, v50
	s_wait_loadcnt 0x11
	v_mul_f32_e32 v46, v9, v172
	global_load_b64 v[150:151], v177, s[16:17] offset:3744
	global_load_b64 v[42:43], v[4:5], off
	global_load_b64 v[152:153], v177, s[16:17] offset:8112
	global_load_b64 v[44:45], v[0:1], off
	v_add_nc_u32_e32 v4, 0x1000, v177
	v_add_nc_u32_e32 v3, 0x400, v177
	v_dual_mul_f32 v5, v8, v172 :: v_dual_add_nc_u32 v2, 0x1800, v177
	v_fmac_f32_e32 v46, v8, v171
	s_load_b64 s[8:9], s[0:1], 0x38
	s_load_b128 s[4:7], s[6:7], 0x0
	v_add_co_u32 v130, s12, s16, v177
	v_fma_f32 v47, v9, v171, -v5
	v_add_nc_u32_e32 v5, 0x800, v177
	s_wait_alu 0xf1ff
	v_add_co_ci_u32_e64 v131, null, s17, 0, s12
	s_wait_loadcnt 0x14
	v_mul_f32_e32 v8, v11, v162
	s_wait_loadcnt 0x13
	v_mul_f32_e32 v48, v13, v170
	v_mul_f32_e32 v49, v10, v162
	s_delay_alu instid0(VALU_DEP_3) | instskip(NEXT) | instid1(VALU_DEP_3)
	v_dual_mul_f32 v51, v12, v170 :: v_dual_fmac_f32 v8, v10, v161
	v_fmac_f32_e32 v48, v12, v169
	s_delay_alu instid0(VALU_DEP_3) | instskip(NEXT) | instid1(VALU_DEP_3)
	v_fma_f32 v9, v11, v161, -v49
	v_fma_f32 v49, v13, v169, -v51
	s_wait_loadcnt 0x11
	v_dual_mul_f32 v10, v7, v166 :: v_dual_mul_f32 v13, v14, v168
	ds_store_b64 v177, v[8:9] offset:4368
	s_wait_loadcnt 0x10
	v_dual_mul_f32 v9, v6, v166 :: v_dual_mul_f32 v12, v16, v160
	v_mul_f32_e32 v8, v15, v168
	ds_store_2addr_b64 v177, v[46:47], v[48:49] offset1:52
	v_fma_f32 v11, v7, v165, -v9
	v_fma_f32 v9, v15, v167, -v13
	s_wait_loadcnt 0xf
	v_mul_f32_e32 v13, v18, v156
	v_fmac_f32_e32 v10, v6, v165
	v_mul_f32_e32 v6, v17, v160
	v_fma_f32 v7, v17, v159, -v12
	v_mul_f32_e32 v12, v19, v156
	v_fma_f32 v13, v19, v155, -v13
	s_delay_alu instid0(VALU_DEP_4) | instskip(NEXT) | instid1(VALU_DEP_3)
	v_fmac_f32_e32 v6, v16, v159
	v_fmac_f32_e32 v12, v18, v155
	ds_store_2addr_b64 v4, v[10:11], v[6:7] offset0:86 offset1:138
	s_wait_loadcnt 0xe
	v_mul_f32_e32 v6, v21, v158
	v_mul_f32_e32 v7, v20, v158
	s_wait_loadcnt 0xc
	v_mul_f32_e32 v15, v24, v147
	v_fmac_f32_e32 v8, v14, v167
	v_mul_f32_e32 v14, v25, v147
	v_fmac_f32_e32 v6, v20, v157
	v_fma_f32 v7, v21, v157, -v7
	v_fma_f32 v15, v25, v146, -v15
	v_mul_f32_e32 v10, v23, v164
	v_dual_fmac_f32 v14, v24, v146 :: v_dual_mul_f32 v11, v22, v164
	s_wait_loadcnt 0xb
	v_mul_f32_e32 v16, v27, v149
	v_mul_f32_e32 v17, v26, v149
	s_wait_loadcnt 0xa
	v_mul_f32_e32 v18, v29, v145
	ds_store_2addr_b64 v177, v[8:9], v[12:13] offset0:104 offset1:156
	ds_store_2addr_b64 v4, v[6:7], v[14:15] offset0:190 offset1:242
	v_mul_f32_e32 v7, v28, v145
	v_fma_f32 v11, v23, v163, -v11
	v_fma_f32 v17, v27, v148, -v17
	v_fmac_f32_e32 v18, v28, v144
	s_wait_loadcnt 0x8
	v_mul_f32_e32 v6, v33, v143
	v_mul_f32_e32 v9, v32, v143
	v_fma_f32 v19, v29, v144, -v7
	v_mul_f32_e32 v8, v31, v133
	s_delay_alu instid0(VALU_DEP_4) | instskip(NEXT) | instid1(VALU_DEP_4)
	v_fmac_f32_e32 v6, v32, v142
	v_fma_f32 v7, v33, v142, -v9
	s_wait_loadcnt 0x7
	v_mul_f32_e32 v12, v34, v137
	v_fmac_f32_e32 v8, v30, v132
	ds_store_2addr_b64 v2, v[18:19], v[6:7] offset0:38 offset1:90
	s_wait_loadcnt 0x6
	v_mul_f32_e32 v6, v37, v141
	v_mul_f32_e32 v7, v36, v141
	s_wait_loadcnt 0x5
	v_mul_f32_e32 v13, v38, v139
	v_fmac_f32_e32 v10, v22, v163
	v_fmac_f32_e32 v6, v36, v140
	v_fma_f32 v7, v37, v140, -v7
	s_wait_loadcnt 0x4
	v_dual_mul_f32 v15, v40, v135 :: v_dual_fmac_f32 v16, v26, v148
	v_mul_f32_e32 v14, v41, v135
	v_fma_f32 v13, v39, v138, -v13
	s_delay_alu instid0(VALU_DEP_3) | instskip(NEXT) | instid1(VALU_DEP_3)
	v_fma_f32 v15, v41, v134, -v15
	v_fmac_f32_e32 v14, v40, v134
	s_wait_loadcnt 0x0
	v_mul_f32_e32 v19, v44, v153
	ds_store_2addr_b64 v3, v[10:11], v[16:17] offset0:80 offset1:132
	v_mul_f32_e32 v11, v30, v133
	v_mul_f32_e32 v10, v35, v137
	;; [unrolled: 1-line block ×3, first 2 shown]
	v_dual_mul_f32 v17, v42, v151 :: v_dual_mul_f32 v18, v45, v153
	s_delay_alu instid0(VALU_DEP_4)
	v_fma_f32 v9, v31, v132, -v11
	v_fma_f32 v11, v35, v136, -v12
	v_mul_f32_e32 v12, v39, v139
	v_fmac_f32_e32 v10, v34, v136
	v_fmac_f32_e32 v16, v42, v150
	v_fma_f32 v17, v43, v150, -v17
	v_fmac_f32_e32 v18, v44, v152
	v_fmac_f32_e32 v12, v38, v138
	v_fma_f32 v19, v45, v152, -v19
	ds_store_2addr_b64 v5, v[8:9], v[10:11] offset0:56 offset1:108
	ds_store_2addr_b64 v2, v[6:7], v[14:15] offset0:142 offset1:194
	;; [unrolled: 1-line block ×3, first 2 shown]
	ds_store_b64 v177, v[18:19] offset:8112
	s_and_saveexec_b32 s12, vcc_lo
	s_cbranch_execz .LBB0_3
; %bb.2:
	v_add_co_u32 v0, s2, v0, s2
	s_wait_alu 0xf1ff
	v_add_co_ci_u32_e64 v1, s2, s3, v1, s2
	s_delay_alu instid0(VALU_DEP_2) | instskip(SKIP_1) | instid1(VALU_DEP_2)
	v_add_co_u32 v6, s2, v0, s10
	s_wait_alu 0xf1ff
	v_add_co_ci_u32_e64 v7, s2, s11, v1, s2
	global_load_b64 v[0:1], v[0:1], off
	s_clause 0x1
	global_load_b64 v[8:9], v[130:131], off offset:4160
	global_load_b64 v[10:11], v[130:131], off offset:8528
	global_load_b64 v[6:7], v[6:7], off
	s_wait_loadcnt 0x2
	v_mul_f32_e32 v12, v1, v9
	v_mul_f32_e32 v13, v0, v9
	s_wait_loadcnt 0x0
	v_mul_f32_e32 v9, v7, v11
	s_delay_alu instid0(VALU_DEP_3) | instskip(NEXT) | instid1(VALU_DEP_3)
	v_dual_mul_f32 v11, v6, v11 :: v_dual_fmac_f32 v12, v0, v8
	v_fma_f32 v13, v1, v8, -v13
	s_delay_alu instid0(VALU_DEP_3) | instskip(NEXT) | instid1(VALU_DEP_3)
	v_fmac_f32_e32 v9, v6, v10
	v_fma_f32 v10, v7, v10, -v11
	ds_store_b64 v177, v[12:13] offset:4160
	ds_store_b64 v177, v[9:10] offset:8528
.LBB0_3:
	s_wait_alu 0xfffe
	s_or_b32 exec_lo, exec_lo, s12
	v_add_nc_u32_e32 v0, 0x1400, v177
	global_wb scope:SCOPE_SE
	s_wait_dscnt 0x0
	s_wait_kmcnt 0x0
	s_barrier_signal -1
	s_barrier_wait -1
	global_inv scope:SCOPE_SE
	ds_load_2addr_b64 v[15:18], v177 offset1:52
	ds_load_2addr_b64 v[39:42], v4 offset0:34 offset1:86
	ds_load_2addr_b64 v[27:30], v177 offset0:104 offset1:156
	;; [unrolled: 1-line block ×9, first 2 shown]
                                        ; implicit-def: $vgpr43
                                        ; implicit-def: $vgpr0
	s_and_saveexec_b32 s2, vcc_lo
	s_cbranch_execz .LBB0_5
; %bb.4:
	ds_load_b64 v[0:1], v177 offset:4160
	ds_load_b64 v[43:44], v177 offset:8528
.LBB0_5:
	s_wait_alu 0xfffe
	s_or_b32 exec_lo, exec_lo, s2
	s_load_b64 s[2:3], s[0:1], 0x8
	s_wait_dscnt 0x6
	v_dual_sub_f32 v54, v28, v36 :: v_dual_lshlrev_b32 v45, 1, v178
	v_dual_sub_f32 v41, v17, v41 :: v_dual_sub_f32 v42, v18, v42
	v_sub_f32_e32 v53, v27, v35
	s_wait_dscnt 0x4
	v_dual_sub_f32 v31, v19, v31 :: v_dual_sub_f32 v36, v22, v34
	v_sub_f32_e32 v35, v21, v33
	v_dual_sub_f32 v49, v15, v39 :: v_dual_sub_f32 v50, v16, v40
	v_fma_f32 v39, v17, 2.0, -v41
	v_dual_sub_f32 v17, v29, v37 :: v_dual_sub_f32 v32, v20, v32
	v_fma_f32 v40, v18, 2.0, -v42
	v_sub_f32_e32 v18, v30, v38
	v_fma_f32 v34, v22, 2.0, -v36
	s_wait_dscnt 0x2
	v_sub_f32_e32 v22, v8, v24
	v_fma_f32 v33, v21, 2.0, -v35
	v_dual_sub_f32 v21, v7, v23 :: v_dual_sub_f32 v26, v10, v26
	s_wait_dscnt 0x0
	v_dual_sub_f32 v25, v9, v25 :: v_dual_sub_f32 v12, v4, v12
	v_sub_f32_e32 v11, v3, v11
	v_add_co_u32 v81, null, v178, 52
	v_add_co_u32 v80, null, 0x68, v178
	;; [unrolled: 1-line block ×6, first 2 shown]
	v_fma_f32 v47, v15, 2.0, -v49
	v_fma_f32 v48, v16, 2.0, -v50
	;; [unrolled: 1-line block ×8, first 2 shown]
	v_sub_f32_e32 v8, v6, v14
	v_fma_f32 v23, v9, 2.0, -v25
	v_fma_f32 v9, v3, 2.0, -v11
	v_dual_sub_f32 v7, v5, v13 :: v_dual_sub_f32 v2, v0, v43
	v_dual_sub_f32 v3, v1, v44 :: v_dual_lshlrev_b32 v126, 4, v178
	v_fma_f32 v51, v27, 2.0, -v53
	v_fma_f32 v52, v28, 2.0, -v54
	s_delay_alu instid0(VALU_DEP_4) | instskip(NEXT) | instid1(VALU_DEP_4)
	v_fma_f32 v0, v0, 2.0, -v2
	v_fma_f32 v1, v1, 2.0, -v3
	global_wb scope:SCOPE_SE
	s_wait_kmcnt 0x0
	s_barrier_signal -1
	s_barrier_wait -1
	v_lshlrev_b32_e32 v127, 4, v81
	global_inv scope:SCOPE_SE
	ds_store_b128 v126, v[47:50]
	v_lshlrev_b32_e32 v128, 4, v80
	v_lshlrev_b32_e32 v78, 1, v81
	v_lshlrev_b32_e32 v77, 1, v80
	v_lshlrev_b32_e32 v79, 3, v45
	v_lshlrev_b32_e32 v129, 4, v55
	v_add_nc_u32_e32 v76, 0x138, v45
	v_lshlrev_b32_e32 v183, 4, v56
	v_lshlrev_b32_e32 v44, 1, v55
	;; [unrolled: 1-line block ×5, first 2 shown]
	v_add_nc_u32_e32 v196, 0x2d8, v45
	v_add_nc_u32_e32 v197, 0x340, v45
	;; [unrolled: 1-line block ×3, first 2 shown]
	v_lshlrev_b32_e32 v184, 4, v46
	v_fma_f32 v24, v10, 2.0, -v26
	v_fma_f32 v10, v4, 2.0, -v12
	;; [unrolled: 1-line block ×4, first 2 shown]
	ds_store_b128 v127, v[39:42]
	ds_store_b128 v128, v[51:54]
	ds_store_b128 v79, v[15:18] offset:2496
	ds_store_b128 v129, v[29:32]
	ds_store_b128 v183, v[33:36]
	;; [unrolled: 1-line block ×3, first 2 shown]
	ds_store_b128 v79, v[23:26] offset:5824
	ds_store_b128 v79, v[9:12] offset:6656
	;; [unrolled: 1-line block ×3, first 2 shown]
	s_and_saveexec_b32 s0, vcc_lo
	s_cbranch_execz .LBB0_7
; %bb.6:
	ds_store_b128 v184, v[0:3]
.LBB0_7:
	s_wait_alu 0xfffe
	s_or_b32 exec_lo, exec_lo, s0
	v_add_nc_u32_e32 v12, 0x1000, v177
	v_add_nc_u32_e32 v13, 0x400, v177
	;; [unrolled: 1-line block ×5, first 2 shown]
	global_wb scope:SCOPE_SE
	s_wait_dscnt 0x0
	s_barrier_signal -1
	s_barrier_wait -1
	global_inv scope:SCOPE_SE
	ds_load_2addr_b64 v[4:7], v177 offset1:52
	ds_load_2addr_b64 v[24:27], v12 offset0:34 offset1:86
	ds_load_2addr_b64 v[8:11], v177 offset0:104 offset1:156
	ds_load_2addr_b64 v[40:43], v12 offset0:138 offset1:190
	ds_load_2addr_b64 v[20:23], v13 offset0:80 offset1:132
	ds_load_2addr_b64 v[32:35], v14 offset0:114 offset1:166
	ds_load_2addr_b64 v[12:15], v16 offset0:56 offset1:108
	ds_load_2addr_b64 v[28:31], v36 offset0:90 offset1:142
	ds_load_2addr_b64 v[16:19], v16 offset0:160 offset1:212
	ds_load_2addr_b64 v[36:39], v36 offset0:194 offset1:246
	s_and_saveexec_b32 s0, vcc_lo
	s_cbranch_execz .LBB0_9
; %bb.8:
	ds_load_b64 v[0:1], v177 offset:4160
	ds_load_b64 v[2:3], v177 offset:8528
.LBB0_9:
	s_wait_alu 0xfffe
	s_or_b32 exec_lo, exec_lo, s0
	v_and_b32_e32 v180, 1, v178
	s_delay_alu instid0(VALU_DEP_1)
	v_lshlrev_b32_e32 v49, 3, v180
	v_and_or_b32 v45, 0x7c, v45, v180
	global_load_b64 v[173:174], v49, s[2:3]
	v_lshlrev_b32_e32 v195, 3, v45
	global_wb scope:SCOPE_SE
	s_wait_loadcnt_dscnt 0x0
	s_barrier_signal -1
	s_barrier_wait -1
	global_inv scope:SCOPE_SE
	v_mul_f32_e32 v45, v24, v174
	v_mul_f32_e32 v61, v36, v174
	;; [unrolled: 1-line block ×5, first 2 shown]
	v_fmac_f32_e32 v45, v25, v173
	v_fmac_f32_e32 v61, v37, v173
	v_and_or_b32 v50, 0x1fc, v76, v180
	v_and_or_b32 v44, 0x3fc, v44, v180
	;; [unrolled: 1-line block ×8, first 2 shown]
	v_lshlrev_b32_e32 v191, 3, v44
	v_dual_mul_f32 v47, v26, v174 :: v_dual_lshlrev_b32 v190, 3, v47
	v_lshlrev_b32_e32 v182, 1, v46
	v_and_or_b32 v46, 0xfc, v78, v180
	v_lshlrev_b32_e32 v189, 3, v48
	v_lshlrev_b32_e32 v188, 3, v51
	v_dual_mul_f32 v54, v35, v174 :: v_dual_lshlrev_b32 v187, 3, v52
	v_dual_mul_f32 v51, v42, v174 :: v_dual_lshlrev_b32 v186, 3, v53
	v_lshlrev_b32_e32 v192, 3, v50
	v_mul_f32_e32 v50, v43, v174
	v_dual_mul_f32 v52, v33, v174 :: v_dual_lshlrev_b32 v193, 3, v49
	v_mul_f32_e32 v48, v41, v174
	v_mul_f32_e32 v44, v25, v174
	;; [unrolled: 1-line block ×3, first 2 shown]
	v_lshlrev_b32_e32 v194, 3, v46
	v_mul_f32_e32 v46, v27, v174
	v_fmac_f32_e32 v47, v27, v173
	v_fma_f32 v27, v42, v173, -v50
	v_fmac_f32_e32 v49, v41, v173
	v_mul_f32_e32 v53, v32, v174
	v_fma_f32 v32, v32, v173, -v52
	v_mul_f32_e32 v59, v30, v174
	v_fma_f32 v24, v24, v173, -v44
	v_fma_f32 v25, v26, v173, -v46
	;; [unrolled: 1-line block ×3, first 2 shown]
	v_sub_f32_e32 v48, v20, v32
	v_dual_mul_f32 v60, v37, v174 :: v_dual_fmac_f32 v59, v31, v173
	v_mul_f32_e32 v55, v34, v174
	v_fma_f32 v37, v38, v173, -v62
	v_fma_f32 v42, v2, v173, -v64
	v_sub_f32_e32 v2, v4, v24
	s_delay_alu instid0(VALU_DEP_4)
	v_dual_mul_f32 v56, v29, v174 :: v_dual_fmac_f32 v55, v35, v173
	v_fma_f32 v36, v36, v173, -v60
	v_mul_f32_e32 v63, v38, v174
	v_sub_f32_e32 v38, v10, v27
	v_dual_mul_f32 v58, v31, v174 :: v_dual_fmac_f32 v53, v33, v173
	v_fma_f32 v33, v34, v173, -v54
	v_mul_f32_e32 v57, v28, v174
	v_fma_f32 v34, v28, v173, -v56
	s_delay_alu instid0(VALU_DEP_4)
	v_fma_f32 v35, v30, v173, -v58
	v_dual_fmac_f32 v65, v3, v173 :: v_dual_sub_f32 v40, v16, v36
	v_dual_fmac_f32 v63, v39, v173 :: v_dual_sub_f32 v30, v8, v26
	v_fmac_f32_e32 v51, v43, v173
	v_dual_sub_f32 v3, v5, v45 :: v_dual_sub_f32 v36, v0, v42
	v_sub_f32_e32 v50, v22, v33
	v_fmac_f32_e32 v57, v29, v173
	v_dual_sub_f32 v29, v7, v47 :: v_dual_sub_f32 v32, v18, v37
	v_sub_f32_e32 v24, v12, v34
	v_sub_f32_e32 v44, v14, v35
	;; [unrolled: 1-line block ×12, first 2 shown]
	v_fma_f32 v4, v4, 2.0, -v2
	v_fma_f32 v5, v5, 2.0, -v3
	;; [unrolled: 1-line block ×22, first 2 shown]
	ds_store_2addr_b64 v195, v[4:5], v[2:3] offset1:2
	ds_store_2addr_b64 v194, v[6:7], v[28:29] offset1:2
	;; [unrolled: 1-line block ×10, first 2 shown]
	s_and_saveexec_b32 s0, vcc_lo
	s_cbranch_execz .LBB0_11
; %bb.10:
	v_and_or_b32 v0, 0x47c, v182, v180
	s_delay_alu instid0(VALU_DEP_1)
	v_lshlrev_b32_e32 v0, 3, v0
	ds_store_2addr_b64 v0, v[34:35], v[36:37] offset1:2
.LBB0_11:
	s_wait_alu 0xfffe
	s_or_b32 exec_lo, exec_lo, s0
	v_add_nc_u32_e32 v0, 0x800, v177
	v_add_nc_u32_e32 v3, 0xc00, v177
	;; [unrolled: 1-line block ×4, first 2 shown]
	global_wb scope:SCOPE_SE
	s_wait_dscnt 0x0
	s_barrier_signal -1
	s_barrier_wait -1
	global_inv scope:SCOPE_SE
	ds_load_2addr_b64 v[28:31], v177 offset1:84
	ds_load_2addr_b64 v[64:67], v177 offset0:168 offset1:252
	ds_load_2addr_b64 v[60:63], v0 offset0:80 offset1:164
	;; [unrolled: 1-line block ×5, first 2 shown]
	ds_load_b64 v[72:73], v177 offset:8064
	v_cmp_gt_u16_e64 s0, 32, v178
                                        ; implicit-def: $vgpr68
                                        ; implicit-def: $vgpr74
	s_delay_alu instid0(VALU_DEP_1)
	s_and_saveexec_b32 s1, s0
	s_cbranch_execz .LBB0_13
; %bb.12:
	v_add_nc_u32_e32 v3, 0x400, v177
	v_add_nc_u32_e32 v4, 0x1400, v177
	ds_load_2addr_b64 v[24:27], v177 offset0:52 offset1:136
	ds_load_2addr_b64 v[40:43], v0 offset0:132 offset1:216
	;; [unrolled: 1-line block ×6, first 2 shown]
	ds_load_b64 v[74:75], v177 offset:8480
.LBB0_13:
	s_wait_alu 0xfffe
	s_or_b32 exec_lo, exec_lo, s1
	v_and_b32_e32 v179, 3, v178
	s_delay_alu instid0(VALU_DEP_1) | instskip(NEXT) | instid1(VALU_DEP_1)
	v_mul_u32_u24_e32 v0, 12, v179
	v_lshlrev_b32_e32 v20, 3, v0
	s_clause 0x5
	global_load_b128 v[12:15], v20, s[2:3] offset:16
	global_load_b128 v[8:11], v20, s[2:3] offset:32
	;; [unrolled: 1-line block ×6, first 2 shown]
	global_wb scope:SCOPE_SE
	s_wait_loadcnt_dscnt 0x0
	s_barrier_signal -1
	s_barrier_wait -1
	global_inv scope:SCOPE_SE
	v_mul_f32_e32 v103, v31, v13
	v_dual_mul_f32 v104, v30, v13 :: v_dual_mul_f32 v105, v65, v15
	v_mul_f32_e32 v108, v66, v9
	v_dual_mul_f32 v96, v54, v17 :: v_dual_mul_f32 v115, v49, v19
	v_dual_mul_f32 v99, v72, v23 :: v_dual_mul_f32 v118, v27, v13
	;; [unrolled: 1-line block ×11, first 2 shown]
	v_dual_mul_f32 v125, v37, v7 :: v_dual_fmac_f32 v104, v31, v12
	v_fma_f32 v103, v30, v12, -v103
	v_dual_fmac_f32 v96, v55, v16 :: v_dual_fmac_f32 v99, v73, v22
	v_dual_mul_f32 v109, v61, v11 :: v_dual_mul_f32 v110, v63, v1
	v_dual_mul_f32 v121, v41, v11 :: v_dual_mul_f32 v122, v43, v1
	;; [unrolled: 1-line block ×6, first 2 shown]
	v_dual_mul_f32 v91, v70, v21 :: v_dual_fmac_f32 v106, v65, v14
	v_dual_mul_f32 v92, v74, v23 :: v_dual_fmac_f32 v101, v63, v0
	v_fma_f32 v105, v64, v14, -v105
	v_dual_fmac_f32 v108, v67, v8 :: v_dual_fmac_f32 v97, v49, v18
	v_dual_fmac_f32 v94, v57, v2 :: v_dual_fmac_f32 v95, v59, v4
	v_fma_f32 v57, v58, v4, -v112
	v_fma_f32 v58, v52, v6, -v113
	v_dual_fmac_f32 v100, v53, v6 :: v_dual_fmac_f32 v93, v27, v12
	v_fma_f32 v52, v50, v20, -v116
	v_fmac_f32_e32 v98, v51, v20
	v_fma_f32 v50, v72, v22, -v117
	v_fma_f32 v49, v26, v12, -v118
	v_dual_fmac_f32 v86, v33, v2 :: v_dual_fmac_f32 v87, v35, v4
	v_add_f32_e32 v33, v104, v99
	v_add_f32_e32 v26, v28, v103
	v_dual_mul_f32 v119, v45, v15 :: v_dual_mul_f32 v120, v47, v9
	v_dual_mul_f32 v82, v44, v15 :: v_dual_mul_f32 v83, v46, v9
	;; [unrolled: 1-line block ×3, first 2 shown]
	v_dual_mul_f32 v199, v75, v23 :: v_dual_fmac_f32 v102, v61, v10
	v_fma_f32 v65, v66, v8, -v107
	v_fma_f32 v64, v60, v10, -v109
	;; [unrolled: 1-line block ×4, first 2 shown]
	v_dual_fmac_f32 v84, v41, v10 :: v_dual_fmac_f32 v85, v43, v0
	v_fma_f32 v41, v42, v0, -v122
	v_fma_f32 v42, v32, v2, -v123
	;; [unrolled: 1-line block ×3, first 2 shown]
	v_dual_fmac_f32 v88, v37, v6 :: v_dual_fmac_f32 v89, v39, v16
	v_dual_fmac_f32 v90, v69, v18 :: v_dual_fmac_f32 v91, v71, v20
	v_dual_fmac_f32 v92, v75, v22 :: v_dual_add_f32 v27, v29, v104
	v_dual_add_f32 v32, v103, v50 :: v_dual_sub_f32 v35, v104, v99
	v_dual_sub_f32 v34, v103, v50 :: v_dual_add_f32 v51, v65, v53
	v_add_f32_e32 v37, v106, v98
	s_delay_alu instid0(VALU_DEP_3)
	v_dual_sub_f32 v61, v108, v97 :: v_dual_mul_f32 v72, 0xbeedf032, v35
	v_dual_sub_f32 v71, v101, v100 :: v_dual_add_f32 v26, v26, v105
	v_fma_f32 v60, v62, v0, -v110
	v_fma_f32 v30, v44, v14, -v119
	v_dual_fmac_f32 v82, v45, v14 :: v_dual_fmac_f32 v83, v47, v8
	v_fma_f32 v44, v36, v6, -v125
	v_fma_f32 v45, v38, v16, -v175
	;; [unrolled: 1-line block ×3, first 2 shown]
	v_dual_add_f32 v36, v105, v52 :: v_dual_sub_f32 v39, v106, v98
	v_dual_sub_f32 v38, v105, v52 :: v_dual_add_f32 v55, v108, v97
	v_dual_sub_f32 v59, v65, v53 :: v_dual_add_f32 v62, v64, v54
	v_sub_f32_e32 v67, v102, v96
	v_dual_add_f32 v27, v27, v106 :: v_dual_mul_f32 v74, 0xbf52af12, v35
	v_dual_mul_f32 v73, 0xbeedf032, v34 :: v_dual_add_f32 v26, v26, v65
	v_dual_mul_f32 v75, 0xbf52af12, v34 :: v_dual_mul_f32 v110, 0xbf52af12, v39
	v_dual_mul_f32 v103, 0xbf7e222b, v35 :: v_dual_mul_f32 v104, 0xbf7e222b, v34
	;; [unrolled: 1-line block ×3, first 2 shown]
	s_delay_alu instid0(VALU_DEP_4)
	v_dual_mul_f32 v107, 0xbf29c268, v35 :: v_dual_add_f32 v26, v26, v64
	v_dual_mul_f32 v109, 0xbf29c268, v34 :: v_dual_mul_f32 v210, 0xbf29c268, v71
	v_dual_mul_f32 v35, 0xbe750f2a, v35 :: v_dual_mul_f32 v34, 0xbe750f2a, v34
	v_mul_f32_e32 v175, 0x3eedf032, v61
	v_fma_f32 v56, v56, v2, -v111
	v_fma_f32 v31, v46, v8, -v120
	;; [unrolled: 1-line block ×4, first 2 shown]
	v_mul_f32_e32 v176, 0x3eedf032, v59
	v_fma_f32 v47, v70, v20, -v181
	v_dual_add_f32 v63, v102, v96 :: v_dual_sub_f32 v66, v64, v54
	v_dual_add_f32 v68, v60, v58 :: v_dual_add_f32 v69, v101, v100
	v_sub_f32_e32 v70, v60, v58
	v_dual_mul_f32 v112, 0xbf6f5d39, v39 :: v_dual_mul_f32 v113, 0xbf6f5d39, v38
	v_dual_mul_f32 v114, 0xbe750f2a, v39 :: v_dual_mul_f32 v115, 0xbe750f2a, v38
	;; [unrolled: 1-line block ×4, first 2 shown]
	v_mul_f32_e32 v39, 0x3eedf032, v39
	v_dual_mul_f32 v120, 0xbf7e222b, v61 :: v_dual_mul_f32 v121, 0xbf7e222b, v59
	v_dual_mul_f32 v122, 0xbe750f2a, v61 :: v_dual_mul_f32 v123, 0xbe750f2a, v59
	;; [unrolled: 1-line block ×4, first 2 shown]
	v_dual_add_f32 v27, v27, v108 :: v_dual_fmamk_f32 v108, v33, 0x3f62ad3f, v73
	v_fma_f32 v65, 0x3f62ad3f, v32, -v72
	v_mul_f32_e32 v111, 0xbf52af12, v38
	v_mul_f32_e32 v38, 0x3eedf032, v38
	v_fmac_f32_e32 v72, 0x3f62ad3f, v32
	v_fma_f32 v214, 0x3f116cb1, v32, -v74
	v_dual_fmamk_f32 v215, v33, 0x3f116cb1, v75 :: v_dual_fmac_f32 v74, 0x3f116cb1, v32
	v_fma_f32 v216, 0x3df6dbef, v32, -v103
	v_fmamk_f32 v217, v33, 0x3df6dbef, v104
	v_fma_f32 v104, 0x3df6dbef, v33, -v104
	v_fma_f32 v218, 0xbeb58ec6, v32, -v105
	v_fmamk_f32 v219, v33, 0xbeb58ec6, v106
	v_fmac_f32_e32 v105, 0xbeb58ec6, v32
	v_fma_f32 v220, 0xbf3f9e67, v32, -v107
	v_fmamk_f32 v221, v33, 0xbf3f9e67, v109
	v_fma_f32 v222, 0xbf788fa5, v32, -v35
	v_fma_f32 v238, 0x3f62ad3f, v51, -v175
	v_fmac_f32_e32 v175, 0x3f62ad3f, v51
	v_dual_mul_f32 v181, 0xbf52af12, v61 :: v_dual_add_f32 v72, v28, v72
	v_mul_f32_e32 v61, 0xbf29c268, v61
	v_mul_f32_e32 v199, 0xbf52af12, v59
	v_dual_mul_f32 v59, 0xbf29c268, v59 :: v_dual_add_f32 v74, v28, v74
	v_dual_mul_f32 v200, 0xbf6f5d39, v67 :: v_dual_mul_f32 v201, 0xbf6f5d39, v66
	v_dual_mul_f32 v202, 0x3f29c268, v67 :: v_dual_mul_f32 v203, 0x3f29c268, v66
	;; [unrolled: 1-line block ×5, first 2 shown]
	v_mul_f32_e32 v211, 0xbf29c268, v70
	v_fma_f32 v73, 0x3f62ad3f, v33, -v73
	v_fma_f32 v75, 0x3f116cb1, v33, -v75
	v_fmac_f32_e32 v103, 0x3df6dbef, v32
	v_fma_f32 v106, 0xbeb58ec6, v33, -v106
	v_fmac_f32_e32 v107, 0xbf3f9e67, v32
	v_fma_f32 v109, 0xbf3f9e67, v33, -v109
	v_fmamk_f32 v223, v33, 0xbf788fa5, v34
	v_fmac_f32_e32 v35, 0xbf788fa5, v32
	v_fma_f32 v32, 0xbf788fa5, v33, -v34
	v_fma_f32 v33, 0x3f116cb1, v36, -v110
	;; [unrolled: 1-line block ×3, first 2 shown]
	v_dual_fmamk_f32 v225, v37, 0xbeb58ec6, v113 :: v_dual_fmac_f32 v112, 0xbeb58ec6, v36
	v_fma_f32 v226, 0xbf788fa5, v36, -v114
	v_dual_fmamk_f32 v227, v37, 0xbf788fa5, v115 :: v_dual_fmac_f32 v114, 0xbf788fa5, v36
	v_fma_f32 v115, 0xbf788fa5, v37, -v115
	v_fma_f32 v228, 0xbf3f9e67, v36, -v116
	v_fmac_f32_e32 v116, 0xbf3f9e67, v36
	v_fma_f32 v230, 0x3df6dbef, v36, -v118
	v_dual_fmamk_f32 v231, v37, 0x3df6dbef, v119 :: v_dual_fmac_f32 v118, 0x3df6dbef, v36
	v_fma_f32 v232, 0x3f62ad3f, v36, -v39
	v_fmamk_f32 v233, v37, 0x3f62ad3f, v38
	v_fmac_f32_e32 v39, 0x3f62ad3f, v36
	v_fma_f32 v236, 0xbeb58ec6, v51, -v124
	v_fmac_f32_e32 v124, 0xbeb58ec6, v51
	v_dual_fmamk_f32 v239, v55, 0x3f62ad3f, v176 :: v_dual_add_f32 v104, v29, v104
	v_fma_f32 v246, 0x3f62ad3f, v62, -v204
	v_fmac_f32_e32 v204, 0x3f62ad3f, v62
	v_dual_add_f32 v27, v27, v102 :: v_dual_add_f32 v64, v28, v65
	v_dual_fmamk_f32 v34, v37, 0x3f116cb1, v111 :: v_dual_fmamk_f32 v253, v63, 0x3f116cb1, v66
	v_dual_add_f32 v65, v29, v108 :: v_dual_add_f32 v102, v28, v214
	v_dual_fmac_f32 v110, 0x3f116cb1, v36 :: v_dual_fmamk_f32 v241, v55, 0x3f116cb1, v199
	v_fma_f32 v36, 0x3f62ad3f, v37, -v38
	v_fmamk_f32 v38, v55, 0x3df6dbef, v121
	v_add_f32_e32 v108, v29, v215
	v_fma_f32 v242, 0xbf3f9e67, v51, -v61
	v_dual_fmac_f32 v61, 0xbf3f9e67, v51 :: v_dual_add_f32 v26, v26, v60
	v_dual_add_f32 v214, v28, v216 :: v_dual_add_f32 v215, v29, v217
	v_add_f32_e32 v216, v28, v218
	v_add_f32_e32 v105, v28, v105
	;; [unrolled: 1-line block ×3, first 2 shown]
	v_dual_add_f32 v220, v28, v222 :: v_dual_add_f32 v217, v29, v219
	v_dual_add_f32 v219, v29, v221 :: v_dual_add_f32 v26, v26, v56
	v_fma_f32 v111, 0x3f116cb1, v37, -v111
	v_fma_f32 v113, 0xbeb58ec6, v37, -v113
	v_fmamk_f32 v229, v37, 0xbf3f9e67, v117
	v_fma_f32 v117, 0xbf3f9e67, v37, -v117
	v_fma_f32 v119, 0x3df6dbef, v37, -v119
	;; [unrolled: 1-line block ×3, first 2 shown]
	v_fmac_f32_e32 v120, 0x3df6dbef, v51
	v_fma_f32 v121, 0x3df6dbef, v55, -v121
	v_fma_f32 v234, 0xbf788fa5, v51, -v122
	v_dual_fmamk_f32 v235, v55, 0xbf788fa5, v123 :: v_dual_fmac_f32 v122, 0xbf788fa5, v51
	v_fma_f32 v123, 0xbf788fa5, v55, -v123
	v_fmamk_f32 v237, v55, 0xbeb58ec6, v125
	v_fma_f32 v125, 0xbeb58ec6, v55, -v125
	v_fma_f32 v176, 0x3f62ad3f, v55, -v176
	;; [unrolled: 1-line block ×3, first 2 shown]
	v_dual_fmac_f32 v181, 0x3f116cb1, v51 :: v_dual_add_f32 v106, v29, v106
	v_fma_f32 v199, 0x3f116cb1, v55, -v199
	v_fmamk_f32 v243, v55, 0xbf3f9e67, v59
	v_fma_f32 v51, 0xbf3f9e67, v55, -v59
	v_fma_f32 v55, 0xbeb58ec6, v62, -v200
	v_dual_fmamk_f32 v59, v63, 0xbeb58ec6, v201 :: v_dual_fmac_f32 v200, 0xbeb58ec6, v62
	v_fma_f32 v244, 0xbf3f9e67, v62, -v202
	v_dual_fmamk_f32 v245, v63, 0xbf3f9e67, v203 :: v_dual_fmac_f32 v202, 0xbf3f9e67, v62
	v_dual_fmamk_f32 v247, v63, 0x3f62ad3f, v205 :: v_dual_add_f32 v60, v224, v102
	v_fma_f32 v248, 0x3df6dbef, v62, -v206
	v_dual_fmamk_f32 v249, v63, 0x3df6dbef, v207 :: v_dual_fmac_f32 v206, 0x3df6dbef, v62
	v_fma_f32 v250, 0xbf788fa5, v62, -v208
	v_dual_fmamk_f32 v251, v63, 0xbf788fa5, v209 :: v_dual_fmac_f32 v208, 0xbf788fa5, v62
	v_fma_f32 v252, 0x3f116cb1, v62, -v67
	v_add_f32_e32 v73, v29, v73
	v_add_f32_e32 v75, v29, v75
	;; [unrolled: 1-line block ×6, first 2 shown]
	v_dual_add_f32 v32, v33, v64 :: v_dual_add_f32 v107, v28, v107
	v_dual_add_f32 v28, v28, v35 :: v_dual_add_f32 v33, v34, v65
	v_add_f32_e32 v34, v110, v72
	v_dual_add_f32 v64, v225, v108 :: v_dual_add_f32 v65, v112, v74
	v_add_f32_e32 v102, v228, v216
	v_add_f32_e32 v108, v231, v219
	;; [unrolled: 1-line block ×3, first 2 shown]
	v_dual_add_f32 v27, v27, v101 :: v_dual_add_f32 v110, v232, v220
	v_dual_add_f32 v101, v115, v104 :: v_dual_add_f32 v104, v116, v105
	v_dual_fmac_f32 v67, 0x3f116cb1, v62 :: v_dual_add_f32 v72, v113, v75
	v_fma_f32 v62, 0x3f116cb1, v63, -v66
	v_fmamk_f32 v66, v69, 0xbf3f9e67, v211
	v_add_f32_e32 v28, v39, v28
	v_fma_f32 v201, 0xbeb58ec6, v63, -v201
	v_fma_f32 v203, 0xbf3f9e67, v63, -v203
	;; [unrolled: 1-line block ×6, first 2 shown]
	v_dual_fmac_f32 v210, 0xbf3f9e67, v68 :: v_dual_add_f32 v105, v117, v106
	v_add_f32_e32 v26, v26, v57
	v_dual_add_f32 v106, v230, v218 :: v_dual_add_f32 v35, v111, v73
	v_dual_add_f32 v32, v37, v32 :: v_dual_add_f32 v107, v118, v107
	;; [unrolled: 1-line block ×3, first 2 shown]
	v_add_f32_e32 v75, v114, v103
	s_delay_alu instid0(VALU_DEP_3)
	v_dual_add_f32 v103, v229, v217 :: v_dual_add_f32 v32, v55, v32
	v_dual_add_f32 v34, v120, v34 :: v_dual_add_f32 v109, v119, v109
	v_add_f32_e32 v37, v235, v64
	v_dual_add_f32 v39, v123, v72 :: v_dual_add_f32 v64, v237, v74
	v_add_f32_e32 v72, v125, v101
	;; [unrolled: 2-line block ×3, first 2 shown]
	v_dual_add_f32 v29, v36, v29 :: v_dual_add_f32 v36, v234, v60
	v_dual_add_f32 v101, v176, v105 :: v_dual_add_f32 v28, v67, v28
	v_add_f32_e32 v65, v124, v75
	v_dual_add_f32 v34, v200, v34 :: v_dual_add_f32 v105, v199, v109
	v_dual_add_f32 v75, v175, v104 :: v_dual_add_f32 v104, v181, v107
	;; [unrolled: 1-line block ×4, first 2 shown]
	v_add_f32_e32 v26, v26, v58
	v_dual_mul_f32 v212, 0x3f7e222b, v71 :: v_dual_mul_f32 v213, 0x3f7e222b, v70
	v_add_f32_e32 v27, v27, v94
	v_add_f32_e32 v38, v202, v38
	s_delay_alu instid0(VALU_DEP_4) | instskip(NEXT) | instid1(VALU_DEP_4)
	v_dual_add_f32 v26, v26, v54 :: v_dual_add_f32 v103, v241, v108
	v_fma_f32 v254, 0x3df6dbef, v68, -v212
	v_dual_add_f32 v111, v233, v221 :: v_dual_add_f32 v36, v244, v36
	s_delay_alu instid0(VALU_DEP_3) | instskip(SKIP_2) | instid1(VALU_DEP_3)
	v_dual_add_f32 v26, v26, v53 :: v_dual_add_f32 v39, v203, v39
	v_fmac_f32_e32 v212, 0x3df6dbef, v68
	v_dual_add_f32 v55, v247, v64 :: v_dual_add_f32 v64, v249, v74
	v_dual_add_f32 v26, v26, v52 :: v_dual_add_f32 v29, v51, v29
	v_dual_add_f32 v33, v59, v33 :: v_dual_mul_f32 v52, 0xbf52af12, v71
	s_delay_alu instid0(VALU_DEP_4)
	v_dual_add_f32 v51, v246, v60 :: v_dual_add_f32 v38, v212, v38
	v_dual_add_f32 v60, v205, v72 :: v_dual_add_f32 v27, v27, v95
	;; [unrolled: 1-line block ×3, first 2 shown]
	v_add_f32_e32 v36, v254, v36
	v_add_f32_e32 v26, v26, v50
	v_dual_add_f32 v29, v62, v29 :: v_dual_fmamk_f32 v50, v69, 0x3df6dbef, v213
	v_fma_f32 v62, 0x3df6dbef, v69, -v213
	v_dual_add_f32 v35, v201, v35 :: v_dual_add_f32 v32, v63, v32
	v_mul_f32_e32 v63, 0xbf52af12, v70
	s_delay_alu instid0(VALU_DEP_4) | instskip(SKIP_4) | instid1(VALU_DEP_4)
	v_add_f32_e32 v37, v50, v37
	v_fma_f32 v50, 0x3f116cb1, v68, -v52
	v_add_f32_e32 v39, v62, v39
	v_mul_f32_e32 v62, 0x3e750f2a, v71
	v_add_f32_e32 v58, v207, v101
	v_dual_add_f32 v59, v204, v65 :: v_dual_add_f32 v50, v50, v51
	v_add_f32_e32 v54, v208, v104
	v_dual_add_f32 v61, v248, v73 :: v_dual_fmac_f32 v52, 0x3f116cb1, v68
	v_add_f32_e32 v27, v27, v100
	v_add_f32_e32 v33, v66, v33
	v_fmamk_f32 v51, v69, 0x3f116cb1, v63
	v_fma_f32 v63, 0x3f116cb1, v69, -v63
	v_fma_f32 v66, 0xbf788fa5, v68, -v62
	v_mul_f32_e32 v67, 0x3e750f2a, v70
	v_dual_add_f32 v107, v243, v111 :: v_dual_add_f32 v34, v210, v34
	v_dual_add_f32 v74, v209, v105 :: v_dual_add_f32 v65, v206, v75
	v_add_f32_e32 v51, v51, v55
	v_dual_add_f32 v52, v52, v59 :: v_dual_add_f32 v27, v27, v96
	v_add_f32_e32 v55, v63, v60
	v_dual_add_f32 v59, v66, v61 :: v_dual_fmamk_f32 v60, v69, 0xbf788fa5, v67
	v_mul_f32_e32 v61, 0x3eedf032, v71
	v_fma_f32 v63, 0xbf788fa5, v69, -v67
	v_mul_f32_e32 v66, 0x3eedf032, v70
	v_fma_f32 v211, 0xbf3f9e67, v69, -v211
	v_dual_add_f32 v27, v27, v97 :: v_dual_add_f32 v60, v60, v64
	s_delay_alu instid0(VALU_DEP_4)
	v_dual_add_f32 v53, v253, v107 :: v_dual_add_f32 v58, v63, v58
	v_fma_f32 v64, 0x3f62ad3f, v68, -v61
	v_fmamk_f32 v63, v69, 0x3f62ad3f, v66
	v_fmac_f32_e32 v61, 0x3f62ad3f, v68
	v_fma_f32 v66, 0x3f62ad3f, v69, -v66
	v_dual_add_f32 v106, v242, v110 :: v_dual_add_f32 v73, v251, v103
	v_dual_fmac_f32 v62, 0xbf788fa5, v68 :: v_dual_add_f32 v27, v27, v98
	s_delay_alu instid0(VALU_DEP_4) | instskip(NEXT) | instid1(VALU_DEP_4)
	v_dual_add_f32 v35, v211, v35 :: v_dual_add_f32 v54, v61, v54
	v_add_f32_e32 v61, v66, v74
	s_delay_alu instid0(VALU_DEP_4) | instskip(NEXT) | instid1(VALU_DEP_4)
	v_dual_sub_f32 v66, v94, v95 :: v_dual_add_f32 v75, v252, v106
	v_dual_add_f32 v62, v62, v65 :: v_dual_add_f32 v27, v27, v99
	v_dual_mul_f32 v65, 0xbf6f5d39, v71 :: v_dual_add_f32 v64, v64, v72
	v_mul_f32_e32 v70, 0xbf6f5d39, v70
	v_add_f32_e32 v72, v56, v57
	v_dual_sub_f32 v56, v56, v57 :: v_dual_mul_f32 v57, 0xbe750f2a, v66
	v_add_f32_e32 v63, v63, v73
	v_fma_f32 v67, 0xbeb58ec6, v68, -v65
	v_fmamk_f32 v71, v69, 0xbeb58ec6, v70
	v_fmac_f32_e32 v65, 0xbeb58ec6, v68
	v_fma_f32 v68, 0xbeb58ec6, v69, -v70
	v_dual_add_f32 v69, v94, v95 :: v_dual_mul_f32 v70, 0xbe750f2a, v56
	v_fma_f32 v73, 0xbf788fa5, v72, -v57
	s_delay_alu instid0(VALU_DEP_4) | instskip(NEXT) | instid1(VALU_DEP_3)
	v_dual_add_f32 v28, v65, v28 :: v_dual_add_f32 v67, v67, v75
	v_dual_sub_f32 v104, v82, v91 :: v_dual_fmamk_f32 v65, v69, 0xbf788fa5, v70
	s_delay_alu instid0(VALU_DEP_3)
	v_add_f32_e32 v224, v73, v32
	v_mul_f32_e32 v32, 0x3eedf032, v66
	v_sub_f32_e32 v100, v93, v92
	v_add_f32_e32 v99, v49, v48
	v_add_f32_e32 v225, v65, v33
	v_mul_f32_e32 v33, 0x3eedf032, v56
	v_fma_f32 v65, 0x3f62ad3f, v72, -v32
	v_fmac_f32_e32 v32, 0x3f62ad3f, v72
	v_mul_f32_e32 v123, 0xbf52af12, v100
	v_add_f32_e32 v118, v93, v92
	v_mul_f32_e32 v220, 0xbf29c268, v100
	v_add_f32_e32 v228, v65, v36
	v_add_f32_e32 v230, v32, v38
	v_mul_f32_e32 v32, 0x3f52af12, v66
	v_fmac_f32_e32 v57, 0xbf788fa5, v72
	v_dual_add_f32 v29, v68, v29 :: v_dual_mul_f32 v214, 0xbf6f5d39, v100
	v_dual_mul_f32 v207, 0xbf7e222b, v100 :: v_dual_sub_f32 v116, v83, v90
	s_delay_alu instid0(VALU_DEP_3) | instskip(SKIP_2) | instid1(VALU_DEP_4)
	v_add_f32_e32 v226, v57, v34
	v_mul_f32_e32 v34, 0xbf29c268, v66
	v_dual_mul_f32 v110, 0x3f7e222b, v104 :: v_dual_sub_f32 v201, v84, v89
	v_mul_f32_e32 v74, 0xbf7e222b, v116
	v_mul_f32_e32 v122, 0xbf52af12, v116
	s_delay_alu instid0(VALU_DEP_4) | instskip(SKIP_3) | instid1(VALU_DEP_4)
	v_fma_f32 v36, 0xbf3f9e67, v72, -v34
	v_fmac_f32_e32 v34, 0xbf3f9e67, v72
	v_mul_f32_e32 v109, 0x3f6f5d39, v116
	v_dual_mul_f32 v121, 0x3eedf032, v201 :: v_dual_sub_f32 v218, v86, v87
	v_add_f32_e32 v232, v36, v50
	v_mul_f32_e32 v36, 0x3f52af12, v56
	v_fma_f32 v68, 0xbf788fa5, v69, -v70
	v_add_f32_e32 v234, v34, v52
	v_mul_f32_e32 v34, 0xbf6f5d39, v66
	v_dual_add_f32 v50, v82, v91 :: v_dual_sub_f32 v107, v41, v44
	s_delay_alu instid0(VALU_DEP_4) | instskip(SKIP_2) | instid1(VALU_DEP_4)
	v_add_f32_e32 v227, v68, v35
	v_fmamk_f32 v35, v69, 0x3f62ad3f, v33
	v_fma_f32 v33, 0x3f62ad3f, v69, -v33
	v_dual_sub_f32 v211, v85, v88 :: v_dual_mul_f32 v124, 0xbf29c268, v107
	v_mul_f32_e32 v208, 0x3e750f2a, v201
	s_delay_alu instid0(VALU_DEP_4)
	v_add_f32_e32 v229, v35, v37
	v_mul_f32_e32 v35, 0xbf29c268, v56
	v_fma_f32 v37, 0x3f116cb1, v72, -v32
	v_fmac_f32_e32 v32, 0x3f116cb1, v72
	v_mul_f32_e32 v204, 0xbf52af12, v211
	v_dual_mul_f32 v117, 0xbf29c268, v211 :: v_dual_mul_f32 v212, 0xbf29c268, v218
	s_delay_alu instid0(VALU_DEP_4) | instskip(NEXT) | instid1(VALU_DEP_4)
	v_add_f32_e32 v236, v37, v59
	v_dual_add_f32 v238, v32, v62 :: v_dual_add_f32 v53, v71, v53
	v_sub_f32_e32 v222, v49, v48
	v_add_f32_e32 v231, v33, v39
	v_fmamk_f32 v33, v69, 0xbf3f9e67, v35
	v_fma_f32 v35, 0xbf3f9e67, v69, -v35
	v_fma_f32 v32, 0xbeb58ec6, v72, -v34
	v_fmac_f32_e32 v34, 0xbeb58ec6, v72
	v_mul_f32_e32 v215, 0x3eedf032, v211
	v_add_f32_e32 v233, v33, v51
	v_add_f32_e32 v235, v35, v55
	v_fmamk_f32 v33, v69, 0x3f116cb1, v36
	v_fma_f32 v35, 0x3f116cb1, v69, -v36
	v_add_f32_e32 v240, v32, v64
	v_add_f32_e32 v242, v34, v54
	v_mul_f32_e32 v34, 0x3f7e222b, v56
	v_add_f32_e32 v237, v33, v60
	v_mul_f32_e32 v33, 0xbf6f5d39, v56
	;; [unrolled: 2-line block ×3, first 2 shown]
	v_fmamk_f32 v51, v99, 0xbf3f9e67, v220
	v_mul_f32_e32 v97, 0xbeedf032, v100
	v_fma_f32 v32, 0xbeb58ec6, v69, -v33
	v_fmamk_f32 v36, v69, 0xbeb58ec6, v33
	v_fma_f32 v33, 0x3df6dbef, v72, -v35
	v_dual_add_f32 v58, v24, v51 :: v_dual_fmac_f32 v35, 0x3df6dbef, v72
	s_delay_alu instid0(VALU_DEP_4) | instskip(NEXT) | instid1(VALU_DEP_3)
	v_dual_add_f32 v243, v32, v61 :: v_dual_fmamk_f32 v32, v69, 0x3df6dbef, v34
	v_dual_add_f32 v244, v33, v67 :: v_dual_fmamk_f32 v33, v99, 0x3f62ad3f, v97
	s_delay_alu instid0(VALU_DEP_3) | instskip(NEXT) | instid1(VALU_DEP_3)
	v_add_f32_e32 v246, v35, v28
	v_dual_fmamk_f32 v28, v99, 0x3f116cb1, v123 :: v_dual_add_f32 v245, v32, v53
	v_dual_add_f32 v241, v36, v63 :: v_dual_mul_f32 v210, 0xbf7e222b, v222
	v_mul_f32_e32 v102, 0xbeedf032, v222
	v_fma_f32 v32, 0x3df6dbef, v69, -v34
	v_mul_f32_e32 v202, 0xbf52af12, v222
	v_mul_f32_e32 v64, 0xbf52af12, v104
	v_fma_f32 v35, 0x3df6dbef, v118, -v210
	v_fma_f32 v34, 0x3f62ad3f, v118, -v102
	v_dual_add_f32 v247, v32, v29 :: v_dual_fmamk_f32 v36, v99, 0xbeb58ec6, v214
	s_delay_alu instid0(VALU_DEP_3) | instskip(NEXT) | instid1(VALU_DEP_3)
	v_dual_add_f32 v32, v24, v33 :: v_dual_add_f32 v35, v25, v35
	v_dual_add_f32 v33, v25, v34 :: v_dual_add_f32 v34, v24, v28
	v_fma_f32 v28, 0x3f116cb1, v118, -v202
	s_delay_alu instid0(VALU_DEP_4) | instskip(SKIP_1) | instid1(VALU_DEP_3)
	v_dual_add_f32 v36, v24, v36 :: v_dual_sub_f32 v119, v42, v43
	v_mul_f32_e32 v203, 0xbe750f2a, v218
	v_dual_add_f32 v37, v25, v28 :: v_dual_add_f32 v28, v30, v47
	s_delay_alu instid0(VALU_DEP_3) | instskip(SKIP_2) | instid1(VALU_DEP_4)
	v_mul_f32_e32 v205, 0xbe750f2a, v119
	v_mul_f32_e32 v213, 0xbf29c268, v119
	;; [unrolled: 1-line block ×3, first 2 shown]
	v_fmamk_f32 v54, v28, 0x3f116cb1, v64
	s_delay_alu instid0(VALU_DEP_1) | instskip(SKIP_2) | instid1(VALU_DEP_2)
	v_add_f32_e32 v32, v54, v32
	v_mul_f32_e32 v54, 0x3f29c268, v104
	v_mul_f32_e32 v217, 0xbf6f5d39, v222
	v_fmamk_f32 v60, v28, 0xbf3f9e67, v54
	s_delay_alu instid0(VALU_DEP_1) | instskip(NEXT) | instid1(VALU_DEP_1)
	v_dual_fmamk_f32 v29, v99, 0x3df6dbef, v207 :: v_dual_add_f32 v36, v60, v36
	v_add_f32_e32 v38, v24, v29
	s_delay_alu instid0(VALU_DEP_4) | instskip(SKIP_2) | instid1(VALU_DEP_3)
	v_fma_f32 v29, 0xbeb58ec6, v118, -v217
	v_mul_f32_e32 v223, 0xbf29c268, v222
	v_dual_sub_f32 v60, v31, v46 :: v_dual_sub_f32 v71, v40, v45
	v_add_f32_e32 v39, v25, v29
	s_delay_alu instid0(VALU_DEP_3) | instskip(SKIP_1) | instid1(VALU_DEP_4)
	v_fma_f32 v52, 0xbf3f9e67, v118, -v223
	v_mul_f32_e32 v29, 0xbf6f5d39, v104
	v_dual_sub_f32 v53, v30, v47 :: v_dual_mul_f32 v200, 0xbf52af12, v60
	v_dual_mul_f32 v108, 0xbf6f5d39, v201 :: v_dual_mul_f32 v111, 0xbf6f5d39, v71
	s_delay_alu instid0(VALU_DEP_3) | instskip(NEXT) | instid1(VALU_DEP_3)
	v_dual_add_f32 v59, v25, v52 :: v_dual_fmamk_f32 v52, v28, 0xbeb58ec6, v29
	v_mul_f32_e32 v94, 0xbe750f2a, v53
	v_mul_f32_e32 v65, 0xbf52af12, v53
	;; [unrolled: 1-line block ×3, first 2 shown]
	s_delay_alu instid0(VALU_DEP_4) | instskip(NEXT) | instid1(VALU_DEP_4)
	v_dual_mul_f32 v51, 0xbf6f5d39, v53 :: v_dual_add_f32 v34, v52, v34
	v_fma_f32 v56, 0xbf788fa5, v50, -v94
	s_delay_alu instid0(VALU_DEP_4) | instskip(NEXT) | instid1(VALU_DEP_4)
	v_fma_f32 v55, 0x3f116cb1, v50, -v65
	v_fma_f32 v62, 0x3df6dbef, v50, -v114
	v_mul_f32_e32 v75, 0xbe750f2a, v104
	v_mul_f32_e32 v57, 0x3f29c268, v53
	v_dual_add_f32 v35, v56, v35 :: v_dual_add_f32 v56, v83, v90
	v_fma_f32 v52, 0xbeb58ec6, v50, -v51
	v_dual_add_f32 v69, v62, v59 :: v_dual_mul_f32 v62, 0x3eedf032, v116
	v_add_f32_e32 v33, v55, v33
	s_delay_alu instid0(VALU_DEP_4) | instskip(SKIP_2) | instid1(VALU_DEP_3)
	v_fma_f32 v70, 0x3f116cb1, v56, -v200
	v_mul_f32_e32 v95, 0xbf7e222b, v60
	v_dual_add_f32 v37, v52, v37 :: v_dual_add_f32 v52, v31, v46
	v_dual_mul_f32 v67, 0x3eedf032, v60 :: v_dual_add_f32 v70, v70, v69
	s_delay_alu instid0(VALU_DEP_3) | instskip(SKIP_1) | instid1(VALU_DEP_2)
	v_fma_f32 v66, 0x3df6dbef, v56, -v95
	v_mul_f32_e32 v209, 0x3e750f2a, v71
	v_dual_add_f32 v33, v66, v33 :: v_dual_fmamk_f32 v66, v52, 0x3f62ad3f, v62
	s_delay_alu instid0(VALU_DEP_1) | instskip(SKIP_2) | instid1(VALU_DEP_1)
	v_add_f32_e32 v36, v66, v36
	v_fmamk_f32 v66, v52, 0x3f116cb1, v122
	v_fmamk_f32 v61, v28, 0x3df6dbef, v110
	v_dual_add_f32 v68, v61, v58 :: v_dual_fmamk_f32 v61, v52, 0xbeb58ec6, v109
	v_fmamk_f32 v55, v28, 0xbf788fa5, v75
	v_mul_f32_e32 v58, 0xbe750f2a, v60
	s_delay_alu instid0(VALU_DEP_3) | instskip(SKIP_1) | instid1(VALU_DEP_4)
	v_add_f32_e32 v98, v66, v68
	v_mul_f32_e32 v66, 0x3f29c268, v71
	v_add_f32_e32 v38, v55, v38
	v_fma_f32 v55, 0xbf3f9e67, v50, -v57
	s_delay_alu instid0(VALU_DEP_1) | instskip(SKIP_1) | instid1(VALU_DEP_1)
	v_add_f32_e32 v39, v55, v39
	v_mul_f32_e32 v55, 0xbe750f2a, v116
	v_fmamk_f32 v59, v52, 0xbf788fa5, v55
	s_delay_alu instid0(VALU_DEP_1) | instskip(SKIP_1) | instid1(VALU_DEP_1)
	v_add_f32_e32 v34, v59, v34
	v_fma_f32 v59, 0xbf788fa5, v56, -v58
	v_add_f32_e32 v37, v59, v37
	v_add_f32_e32 v59, v40, v45
	s_delay_alu instid0(VALU_DEP_1) | instskip(SKIP_3) | instid1(VALU_DEP_3)
	v_fmamk_f32 v72, v59, 0xbeb58ec6, v108
	v_dual_add_f32 v38, v61, v38 :: v_dual_fmamk_f32 v69, v59, 0x3f62ad3f, v121
	v_fmamk_f32 v63, v52, 0x3df6dbef, v74
	v_fma_f32 v61, 0x3f62ad3f, v56, -v67
	v_dual_add_f32 v38, v69, v38 :: v_dual_mul_f32 v113, 0x3f6f5d39, v60
	s_delay_alu instid0(VALU_DEP_2) | instskip(SKIP_2) | instid1(VALU_DEP_4)
	v_dual_add_f32 v32, v63, v32 :: v_dual_add_f32 v39, v61, v39
	v_mul_f32_e32 v61, 0x3f29c268, v201
	v_add_f32_e32 v69, v85, v88
	v_fma_f32 v63, 0xbeb58ec6, v56, -v113
	s_delay_alu instid0(VALU_DEP_4) | instskip(SKIP_2) | instid1(VALU_DEP_4)
	v_add_f32_e32 v32, v72, v32
	v_mul_f32_e32 v72, 0xbf7e222b, v201
	v_fmamk_f32 v68, v59, 0xbf3f9e67, v61
	v_add_f32_e32 v35, v63, v35
	v_add_f32_e32 v63, v84, v89
	s_delay_alu instid0(VALU_DEP_3) | instskip(NEXT) | instid1(VALU_DEP_2)
	v_dual_fmamk_f32 v101, v59, 0x3df6dbef, v72 :: v_dual_add_f32 v34, v68, v34
	v_fma_f32 v68, 0xbf3f9e67, v63, -v66
	v_mul_f32_e32 v96, 0xbf7e222b, v71
	v_fma_f32 v103, 0xbf788fa5, v63, -v209
	s_delay_alu instid0(VALU_DEP_4) | instskip(SKIP_2) | instid1(VALU_DEP_4)
	v_add_f32_e32 v36, v101, v36
	v_fma_f32 v73, 0xbeb58ec6, v63, -v111
	v_dual_add_f32 v37, v68, v37 :: v_dual_add_f32 v68, v41, v44
	v_dual_add_f32 v103, v103, v70 :: v_dual_mul_f32 v70, 0x3f7e222b, v211
	s_delay_alu instid0(VALU_DEP_3) | instskip(NEXT) | instid1(VALU_DEP_3)
	v_dual_mul_f32 v206, 0xbf52af12, v107 :: v_dual_add_f32 v33, v73, v33
	v_fmamk_f32 v112, v68, 0x3f116cb1, v204
	v_mul_f32_e32 v216, 0x3eedf032, v107
	s_delay_alu instid0(VALU_DEP_3) | instskip(NEXT) | instid1(VALU_DEP_3)
	v_fma_f32 v115, 0x3f116cb1, v69, -v206
	v_add_f32_e32 v120, v112, v38
	v_fmamk_f32 v105, v68, 0xbf3f9e67, v117
	v_fmamk_f32 v38, v68, 0x3f62ad3f, v215
	v_mul_f32_e32 v112, 0x3e750f2a, v107
	s_delay_alu instid0(VALU_DEP_3) | instskip(SKIP_1) | instid1(VALU_DEP_1)
	v_dual_add_f32 v32, v105, v32 :: v_dual_mul_f32 v105, 0x3e750f2a, v211
	v_fmamk_f32 v101, v59, 0xbf788fa5, v208
	v_add_f32_e32 v101, v101, v98
	v_mul_f32_e32 v125, 0x3eedf032, v71
	v_fmamk_f32 v98, v68, 0x3df6dbef, v70
	s_delay_alu instid0(VALU_DEP_3) | instskip(NEXT) | instid1(VALU_DEP_3)
	v_add_f32_e32 v248, v38, v101
	v_fma_f32 v73, 0x3f62ad3f, v63, -v125
	s_delay_alu instid0(VALU_DEP_3) | instskip(SKIP_2) | instid1(VALU_DEP_4)
	v_add_f32_e32 v34, v98, v34
	v_fmamk_f32 v98, v68, 0xbf788fa5, v105
	v_mul_f32_e32 v101, 0x3eedf032, v218
	v_add_f32_e32 v35, v73, v35
	v_fma_f32 v73, 0x3df6dbef, v63, -v96
	s_delay_alu instid0(VALU_DEP_4)
	v_add_f32_e32 v181, v98, v36
	v_add_f32_e32 v98, v42, v43
	v_fma_f32 v36, 0xbf788fa5, v69, -v112
	v_add_f32_e32 v35, v115, v35
	v_add_f32_e32 v39, v73, v39
	v_fma_f32 v73, 0xbf3f9e67, v69, -v124
	v_fmamk_f32 v115, v98, 0xbf3f9e67, v212
	s_delay_alu instid0(VALU_DEP_3) | instskip(NEXT) | instid1(VALU_DEP_3)
	v_add_f32_e32 v199, v36, v39
	v_dual_add_f32 v33, v73, v33 :: v_dual_fmamk_f32 v36, v98, 0xbf788fa5, v203
	s_delay_alu instid0(VALU_DEP_1) | instskip(NEXT) | instid1(VALU_DEP_1)
	v_dual_add_f32 v175, v36, v32 :: v_dual_fmamk_f32 v36, v98, 0x3f62ad3f, v101
	v_dual_mul_f32 v73, 0x3f7e222b, v107 :: v_dual_add_f32 v38, v36, v34
	s_delay_alu instid0(VALU_DEP_1) | instskip(SKIP_1) | instid1(VALU_DEP_2)
	v_fma_f32 v106, 0x3df6dbef, v69, -v73
	v_dual_add_f32 v36, v115, v120 :: v_dual_mul_f32 v115, 0x3f52af12, v218
	v_dual_mul_f32 v120, 0x3f52af12, v119 :: v_dual_add_f32 v37, v106, v37
	v_fma_f32 v106, 0x3f62ad3f, v69, -v216
	s_delay_alu instid0(VALU_DEP_1) | instskip(SKIP_2) | instid1(VALU_DEP_2)
	v_add_f32_e32 v249, v106, v103
	v_add_f32_e32 v106, v86, v87
	v_mul_f32_e32 v103, 0x3eedf032, v119
	v_fma_f32 v32, 0xbf788fa5, v106, -v205
	s_delay_alu instid0(VALU_DEP_2) | instskip(SKIP_2) | instid1(VALU_DEP_4)
	v_fma_f32 v39, 0x3f62ad3f, v106, -v103
	v_fma_f32 v219, 0xbf3f9e67, v106, -v213
	;; [unrolled: 1-line block ×3, first 2 shown]
	v_add_f32_e32 v176, v32, v33
	v_lshrrev_b32_e32 v32, 2, v178
	v_add_f32_e32 v39, v39, v37
	v_add_f32_e32 v37, v219, v35
	v_mul_f32_e32 v219, 0xbf6f5d39, v218
	v_fmamk_f32 v33, v98, 0x3f116cb1, v115
	v_mul_u32_u24_e32 v32, 52, v32
	v_fma_f32 v35, 0x3f116cb1, v106, -v120
	s_delay_alu instid0(VALU_DEP_4) | instskip(NEXT) | instid1(VALU_DEP_4)
	v_fmamk_f32 v250, v98, 0xbeb58ec6, v219
	v_add_f32_e32 v34, v33, v181
	s_delay_alu instid0(VALU_DEP_4) | instskip(NEXT) | instid1(VALU_DEP_4)
	v_or_b32_e32 v252, v32, v179
	v_add_f32_e32 v35, v35, v199
	s_delay_alu instid0(VALU_DEP_4) | instskip(SKIP_1) | instid1(VALU_DEP_4)
	v_dual_add_f32 v33, v251, v249 :: v_dual_add_f32 v32, v250, v248
	v_lshrrev_b32_e32 v181, 2, v81
	v_lshlrev_b32_e32 v199, 3, v252
	ds_store_2addr_b64 v199, v[26:27], v[224:225] offset1:4
	ds_store_2addr_b64 v199, v[228:229], v[232:233] offset0:8 offset1:12
	ds_store_2addr_b64 v199, v[236:237], v[240:241] offset0:16 offset1:20
	;; [unrolled: 1-line block ×5, first 2 shown]
	ds_store_b64 v199, v[226:227] offset:384
	s_and_saveexec_b32 s1, s0
	s_cbranch_execz .LBB0_15
; %bb.14:
	v_mul_f32_e32 v81, 0xbf3f9e67, v118
	v_mul_f32_e32 v26, 0xbf788fa5, v118
	v_mul_f32_e32 v100, 0xbe750f2a, v100
	v_mul_f32_e32 v224, 0x3f116cb1, v63
	s_delay_alu instid0(VALU_DEP_4) | instskip(NEXT) | instid1(VALU_DEP_4)
	v_dual_mul_f32 v104, 0x3eedf032, v104 :: v_dual_add_f32 v81, v223, v81
	v_fmamk_f32 v27, v222, 0x3e750f2a, v26
	v_fmac_f32_e32 v26, 0xbe750f2a, v222
	v_mul_f32_e32 v222, 0xbf3f9e67, v99
	v_mul_f32_e32 v116, 0xbf29c268, v116
	;; [unrolled: 1-line block ×4, first 2 shown]
	s_delay_alu instid0(VALU_DEP_4) | instskip(SKIP_3) | instid1(VALU_DEP_4)
	v_dual_add_f32 v49, v24, v49 :: v_dual_sub_f32 v220, v222, v220
	v_mul_f32_e32 v222, 0xbeb58ec6, v118
	v_mul_f32_e32 v223, 0xbf3f9e67, v56
	v_mul_f32_e32 v201, 0x3f52af12, v201
	v_dual_mul_f32 v211, 0xbf6f5d39, v211 :: v_dual_add_f32 v30, v49, v30
	s_delay_alu instid0(VALU_DEP_4) | instskip(NEXT) | instid1(VALU_DEP_1)
	v_dual_add_f32 v217, v217, v222 :: v_dual_mul_f32 v222, 0xbeb58ec6, v99
	v_dual_add_f32 v30, v30, v31 :: v_dual_add_f32 v217, v25, v217
	s_delay_alu instid0(VALU_DEP_2) | instskip(SKIP_1) | instid1(VALU_DEP_3)
	v_sub_f32_e32 v214, v222, v214
	v_mul_f32_e32 v222, 0x3df6dbef, v118
	v_add_f32_e32 v30, v30, v40
	s_delay_alu instid0(VALU_DEP_2) | instskip(SKIP_1) | instid1(VALU_DEP_3)
	v_add_f32_e32 v210, v210, v222
	v_mul_f32_e32 v222, 0x3df6dbef, v99
	v_dual_add_f32 v30, v30, v41 :: v_dual_mul_f32 v41, 0xbf3f9e67, v50
	s_delay_alu instid0(VALU_DEP_2) | instskip(SKIP_1) | instid1(VALU_DEP_3)
	v_dual_sub_f32 v207, v222, v207 :: v_dual_mul_f32 v222, 0x3f116cb1, v118
	v_mul_f32_e32 v118, 0x3f62ad3f, v118
	v_dual_add_f32 v30, v30, v42 :: v_dual_add_f32 v41, v57, v41
	s_delay_alu instid0(VALU_DEP_3) | instskip(SKIP_1) | instid1(VALU_DEP_4)
	v_dual_add_f32 v207, v24, v207 :: v_dual_add_f32 v202, v202, v222
	v_mul_f32_e32 v222, 0x3f116cb1, v99
	v_add_f32_e32 v102, v102, v118
	v_fmamk_f32 v118, v99, 0xbf788fa5, v100
	v_fma_f32 v100, 0xbf788fa5, v99, -v100
	v_mul_f32_e32 v99, 0x3f62ad3f, v99
	v_dual_sub_f32 v123, v222, v123 :: v_dual_mul_f32 v222, 0x3f62ad3f, v50
	v_add_f32_e32 v214, v24, v214
	s_delay_alu instid0(VALU_DEP_3)
	v_dual_add_f32 v100, v24, v100 :: v_dual_sub_f32 v97, v99, v97
	v_add_f32_e32 v99, v24, v118
	v_add_f32_e32 v118, v25, v26
	v_add_f32_e32 v27, v25, v27
	v_dual_add_f32 v26, v25, v81 :: v_dual_add_f32 v81, v24, v220
	v_add_f32_e32 v123, v24, v123
	v_dual_add_f32 v97, v24, v97 :: v_dual_fmamk_f32 v24, v53, 0xbeedf032, v222
	v_add_f32_e32 v210, v25, v210
	v_add_f32_e32 v202, v25, v202
	;; [unrolled: 1-line block ×5, first 2 shown]
	v_fmamk_f32 v25, v60, 0x3f29c268, v223
	v_dual_fmac_f32 v223, 0xbf29c268, v60 :: v_dual_add_f32 v30, v30, v43
	v_mul_f32_e32 v43, 0x3f62ad3f, v56
	v_add_f32_e32 v41, v41, v217
	s_delay_alu instid0(VALU_DEP_4) | instskip(NEXT) | instid1(VALU_DEP_3)
	v_dual_add_f32 v24, v25, v24 :: v_dual_fmamk_f32 v25, v71, 0xbf52af12, v224
	v_dual_add_f32 v30, v30, v44 :: v_dual_add_f32 v43, v67, v43
	s_delay_alu instid0(VALU_DEP_2) | instskip(NEXT) | instid1(VALU_DEP_2)
	v_dual_add_f32 v24, v25, v24 :: v_dual_fmamk_f32 v25, v28, 0x3f62ad3f, v104
	v_add_f32_e32 v30, v30, v45
	s_delay_alu instid0(VALU_DEP_3) | instskip(SKIP_4) | instid1(VALU_DEP_4)
	v_add_f32_e32 v41, v43, v41
	v_mul_f32_e32 v43, 0x3df6dbef, v63
	v_fma_f32 v45, 0x3f116cb1, v59, -v201
	v_add_f32_e32 v25, v25, v99
	v_dual_mul_f32 v99, 0xbeb58ec6, v69 :: v_dual_add_f32 v30, v30, v46
	v_dual_add_f32 v43, v96, v43 :: v_dual_mul_f32 v46, 0xbeb58ec6, v50
	s_delay_alu instid0(VALU_DEP_2) | instskip(NEXT) | instid1(VALU_DEP_2)
	v_dual_fmamk_f32 v27, v107, 0x3f6f5d39, v99 :: v_dual_add_f32 v30, v30, v47
	v_add_f32_e32 v41, v43, v41
	v_fmac_f32_e32 v99, 0xbf6f5d39, v107
	v_fma_f32 v47, 0xbeb58ec6, v68, -v211
	s_delay_alu instid0(VALU_DEP_4) | instskip(SKIP_2) | instid1(VALU_DEP_3)
	v_dual_add_f32 v24, v27, v24 :: v_dual_fmamk_f32 v27, v52, 0xbf3f9e67, v116
	v_add_f32_e32 v30, v30, v48
	v_add_f32_e32 v46, v51, v46
	v_dual_mul_f32 v48, 0x3df6dbef, v68 :: v_dual_add_f32 v25, v27, v25
	v_fmamk_f32 v27, v59, 0x3f116cb1, v201
	v_fmac_f32_e32 v222, 0x3eedf032, v53
	s_delay_alu instid0(VALU_DEP_2) | instskip(NEXT) | instid1(VALU_DEP_2)
	v_dual_sub_f32 v48, v48, v70 :: v_dual_add_f32 v25, v27, v25
	v_dual_fmamk_f32 v27, v68, 0xbeb58ec6, v211 :: v_dual_add_f32 v40, v222, v118
	s_delay_alu instid0(VALU_DEP_1) | instskip(SKIP_1) | instid1(VALU_DEP_3)
	v_add_f32_e32 v27, v27, v25
	v_fmamk_f32 v25, v119, 0xbf7e222b, v225
	v_add_f32_e32 v40, v223, v40
	s_delay_alu instid0(VALU_DEP_2) | instskip(SKIP_1) | instid1(VALU_DEP_2)
	v_dual_fmac_f32 v224, 0x3f52af12, v71 :: v_dual_add_f32 v25, v25, v24
	v_fmamk_f32 v24, v98, 0x3df6dbef, v218
	v_add_f32_e32 v40, v224, v40
	s_delay_alu instid0(VALU_DEP_2) | instskip(NEXT) | instid1(VALU_DEP_1)
	v_dual_add_f32 v24, v24, v27 :: v_dual_mul_f32 v27, 0x3df6dbef, v50
	v_dual_add_f32 v40, v99, v40 :: v_dual_add_f32 v27, v114, v27
	v_fma_f32 v42, 0x3f62ad3f, v28, -v104
	s_delay_alu instid0(VALU_DEP_2) | instskip(NEXT) | instid1(VALU_DEP_1)
	v_dual_add_f32 v26, v27, v26 :: v_dual_mul_f32 v27, 0x3f116cb1, v56
	v_dual_add_f32 v42, v42, v100 :: v_dual_add_f32 v27, v200, v27
	v_mul_f32_e32 v93, 0x3df6dbef, v28
	v_fma_f32 v44, 0xbf3f9e67, v52, -v116
	s_delay_alu instid0(VALU_DEP_3) | instskip(NEXT) | instid1(VALU_DEP_3)
	v_dual_add_f32 v26, v27, v26 :: v_dual_mul_f32 v27, 0xbf788fa5, v63
	v_sub_f32_e32 v93, v93, v110
	s_delay_alu instid0(VALU_DEP_3) | instskip(NEXT) | instid1(VALU_DEP_3)
	v_add_f32_e32 v42, v44, v42
	v_dual_mul_f32 v44, 0xbf3f9e67, v28 :: v_dual_add_f32 v27, v209, v27
	s_delay_alu instid0(VALU_DEP_3) | instskip(NEXT) | instid1(VALU_DEP_3)
	v_add_f32_e32 v81, v93, v81
	v_add_f32_e32 v42, v45, v42
	s_delay_alu instid0(VALU_DEP_3) | instskip(NEXT) | instid1(VALU_DEP_4)
	v_dual_sub_f32 v44, v44, v54 :: v_dual_mul_f32 v45, 0xbf788fa5, v69
	v_dual_add_f32 v26, v27, v26 :: v_dual_mul_f32 v27, 0x3f62ad3f, v69
	s_delay_alu instid0(VALU_DEP_3) | instskip(NEXT) | instid1(VALU_DEP_3)
	v_add_f32_e32 v47, v47, v42
	v_dual_add_f32 v43, v44, v214 :: v_dual_mul_f32 v44, 0x3f62ad3f, v52
	s_delay_alu instid0(VALU_DEP_4) | instskip(NEXT) | instid1(VALU_DEP_4)
	v_add_f32_e32 v45, v112, v45
	v_add_f32_e32 v27, v216, v27
	s_delay_alu instid0(VALU_DEP_3) | instskip(NEXT) | instid1(VALU_DEP_2)
	v_dual_mul_f32 v93, 0x3f116cb1, v52 :: v_dual_sub_f32 v44, v44, v62
	v_dual_add_f32 v41, v45, v41 :: v_dual_add_f32 v26, v27, v26
	s_delay_alu instid0(VALU_DEP_2) | instskip(SKIP_1) | instid1(VALU_DEP_4)
	v_sub_f32_e32 v93, v93, v122
	v_mul_f32_e32 v45, 0xbf788fa5, v68
	v_add_f32_e32 v43, v44, v43
	s_delay_alu instid0(VALU_DEP_3) | instskip(SKIP_1) | instid1(VALU_DEP_2)
	v_dual_mul_f32 v44, 0x3df6dbef, v59 :: v_dual_add_f32 v81, v93, v81
	v_mul_f32_e32 v93, 0xbf788fa5, v59
	v_dual_sub_f32 v45, v45, v105 :: v_dual_sub_f32 v44, v44, v72
	s_delay_alu instid0(VALU_DEP_1) | instskip(SKIP_1) | instid1(VALU_DEP_2)
	v_dual_sub_f32 v93, v93, v208 :: v_dual_add_f32 v42, v44, v43
	v_dual_mul_f32 v44, 0xbf788fa5, v56 :: v_dual_add_f32 v43, v46, v202
	v_add_f32_e32 v27, v93, v81
	v_mul_f32_e32 v81, 0x3f62ad3f, v68
	s_delay_alu instid0(VALU_DEP_3) | instskip(SKIP_1) | instid1(VALU_DEP_3)
	v_dual_mul_f32 v93, 0xbeb58ec6, v106 :: v_dual_add_f32 v44, v58, v44
	v_dual_add_f32 v45, v45, v42 :: v_dual_mul_f32 v42, 0xbf3f9e67, v59
	v_sub_f32_e32 v81, v81, v215
	s_delay_alu instid0(VALU_DEP_3) | instskip(NEXT) | instid1(VALU_DEP_4)
	v_add_f32_e32 v93, v221, v93
	v_dual_add_f32 v43, v44, v43 :: v_dual_mul_f32 v44, 0xbf788fa5, v52
	s_delay_alu instid0(VALU_DEP_3) | instskip(SKIP_1) | instid1(VALU_DEP_3)
	v_dual_mul_f32 v46, 0x3f116cb1, v106 :: v_dual_add_f32 v81, v81, v27
	v_dual_mul_f32 v27, 0xbeb58ec6, v98 :: v_dual_sub_f32 v42, v42, v61
	v_sub_f32_e32 v44, v44, v55
	s_delay_alu instid0(VALU_DEP_3) | instskip(NEXT) | instid1(VALU_DEP_3)
	v_add_f32_e32 v46, v120, v46
	v_dual_sub_f32 v110, v27, v219 :: v_dual_add_f32 v27, v93, v26
	v_mul_f32_e32 v93, 0xbeb58ec6, v56
	s_delay_alu instid0(VALU_DEP_3) | instskip(NEXT) | instid1(VALU_DEP_3)
	v_add_f32_e32 v41, v46, v41
	v_dual_add_f32 v26, v110, v81 :: v_dual_mul_f32 v81, 0xbf788fa5, v50
	s_delay_alu instid0(VALU_DEP_3) | instskip(NEXT) | instid1(VALU_DEP_2)
	v_add_f32_e32 v93, v113, v93
	v_dual_add_f32 v81, v94, v81 :: v_dual_mul_f32 v94, 0xbf788fa5, v28
	s_delay_alu instid0(VALU_DEP_1) | instskip(NEXT) | instid1(VALU_DEP_2)
	v_add_f32_e32 v81, v81, v210
	v_dual_sub_f32 v75, v94, v75 :: v_dual_mul_f32 v94, 0xbeb58ec6, v52
	s_delay_alu instid0(VALU_DEP_2) | instskip(SKIP_1) | instid1(VALU_DEP_3)
	v_add_f32_e32 v81, v93, v81
	v_mul_f32_e32 v93, 0x3f62ad3f, v63
	v_dual_add_f32 v75, v75, v207 :: v_dual_sub_f32 v94, v94, v109
	s_delay_alu instid0(VALU_DEP_2) | instskip(NEXT) | instid1(VALU_DEP_2)
	v_add_f32_e32 v93, v125, v93
	v_add_f32_e32 v75, v94, v75
	s_delay_alu instid0(VALU_DEP_2) | instskip(SKIP_1) | instid1(VALU_DEP_2)
	v_dual_mul_f32 v94, 0x3f62ad3f, v59 :: v_dual_add_f32 v81, v93, v81
	v_mul_f32_e32 v93, 0x3f116cb1, v69
	v_sub_f32_e32 v94, v94, v121
	s_delay_alu instid0(VALU_DEP_2) | instskip(NEXT) | instid1(VALU_DEP_2)
	v_add_f32_e32 v93, v206, v93
	v_dual_add_f32 v75, v94, v75 :: v_dual_mul_f32 v94, 0xbf3f9e67, v106
	s_delay_alu instid0(VALU_DEP_2) | instskip(NEXT) | instid1(VALU_DEP_2)
	v_add_f32_e32 v81, v93, v81
	v_dual_mul_f32 v93, 0x3f116cb1, v68 :: v_dual_add_f32 v94, v213, v94
	s_delay_alu instid0(VALU_DEP_1) | instskip(SKIP_1) | instid1(VALU_DEP_2)
	v_dual_sub_f32 v93, v93, v204 :: v_dual_add_f32 v94, v94, v81
	v_mul_f32_e32 v81, 0x3f116cb1, v28
	v_dual_mul_f32 v28, 0xbeb58ec6, v28 :: v_dual_add_f32 v75, v93, v75
	s_delay_alu instid0(VALU_DEP_2) | instskip(NEXT) | instid1(VALU_DEP_2)
	v_dual_mul_f32 v93, 0xbf3f9e67, v98 :: v_dual_sub_f32 v64, v81, v64
	v_dual_mul_f32 v81, 0x3df6dbef, v52 :: v_dual_sub_f32 v28, v28, v29
	s_delay_alu instid0(VALU_DEP_2) | instskip(NEXT) | instid1(VALU_DEP_3)
	v_sub_f32_e32 v93, v93, v212
	v_dual_mul_f32 v29, 0xbf3f9e67, v63 :: v_dual_add_f32 v64, v64, v97
	s_delay_alu instid0(VALU_DEP_3) | instskip(NEXT) | instid1(VALU_DEP_4)
	v_sub_f32_e32 v74, v81, v74
	v_add_f32_e32 v28, v28, v123
	s_delay_alu instid0(VALU_DEP_4) | instskip(SKIP_4) | instid1(VALU_DEP_4)
	v_add_f32_e32 v93, v93, v75
	v_mul_f32_e32 v75, 0x3f116cb1, v50
	v_add_f32_e32 v29, v66, v29
	v_add_f32_e32 v64, v74, v64
	v_mul_f32_e32 v74, 0xbeb58ec6, v59
	v_dual_add_f32 v28, v44, v28 :: v_dual_add_f32 v65, v65, v75
	v_mul_f32_e32 v75, 0x3df6dbef, v56
	s_delay_alu instid0(VALU_DEP_3) | instskip(SKIP_1) | instid1(VALU_DEP_4)
	v_dual_add_f32 v29, v29, v43 :: v_dual_sub_f32 v74, v74, v108
	v_mul_f32_e32 v43, 0x3df6dbef, v69
	v_add_f32_e32 v65, v65, v102
	s_delay_alu instid0(VALU_DEP_4) | instskip(NEXT) | instid1(VALU_DEP_4)
	v_dual_add_f32 v75, v95, v75 :: v_dual_add_f32 v28, v42, v28
	v_add_f32_e32 v64, v74, v64
	s_delay_alu instid0(VALU_DEP_4) | instskip(NEXT) | instid1(VALU_DEP_3)
	v_dual_mul_f32 v74, 0xbf3f9e67, v68 :: v_dual_add_f32 v43, v73, v43
	v_add_f32_e32 v65, v75, v65
	v_mul_f32_e32 v75, 0xbeb58ec6, v63
	v_mul_f32_e32 v42, 0x3f62ad3f, v106
	s_delay_alu instid0(VALU_DEP_4) | instskip(SKIP_3) | instid1(VALU_DEP_4)
	v_sub_f32_e32 v74, v74, v117
	v_add_f32_e32 v43, v43, v29
	v_mul_u32_u24_e32 v29, 52, v181
	v_dual_add_f32 v75, v111, v75 :: v_dual_mul_f32 v44, 0x3f116cb1, v98
	v_add_f32_e32 v64, v74, v64
	v_mul_f32_e32 v74, 0xbf788fa5, v98
	s_delay_alu instid0(VALU_DEP_4) | instskip(NEXT) | instid1(VALU_DEP_4)
	v_or_b32_e32 v50, v29, v179
	v_add_f32_e32 v65, v75, v65
	v_mul_f32_e32 v75, 0xbf3f9e67, v69
	v_fmac_f32_e32 v225, 0x3f7e222b, v119
	v_sub_f32_e32 v74, v74, v203
	v_lshlrev_b32_e32 v46, 3, v50
	s_delay_alu instid0(VALU_DEP_4) | instskip(SKIP_1) | instid1(VALU_DEP_4)
	v_dual_add_f32 v42, v103, v42 :: v_dual_add_f32 v75, v124, v75
	v_add_f32_e32 v28, v48, v28
	v_add_f32_e32 v64, v74, v64
	;; [unrolled: 1-line block ×3, first 2 shown]
	s_delay_alu instid0(VALU_DEP_4) | instskip(SKIP_2) | instid1(VALU_DEP_4)
	v_dual_sub_f32 v44, v44, v115 :: v_dual_add_f32 v65, v75, v65
	v_mul_f32_e32 v75, 0xbf788fa5, v106
	v_fma_f32 v48, 0x3df6dbef, v98, -v218
	v_add_f32_e32 v49, v74, v83
	v_add_f32_e32 v29, v225, v40
	;; [unrolled: 1-line block ×3, first 2 shown]
	v_dual_add_f32 v75, v205, v75 :: v_dual_add_f32 v40, v44, v45
	s_delay_alu instid0(VALU_DEP_4) | instskip(SKIP_1) | instid1(VALU_DEP_3)
	v_add_f32_e32 v31, v49, v84
	v_mul_f32_e32 v49, 0x3f62ad3f, v98
	v_add_f32_e32 v65, v75, v65
	s_delay_alu instid0(VALU_DEP_3) | instskip(NEXT) | instid1(VALU_DEP_3)
	v_add_f32_e32 v31, v31, v85
	v_sub_f32_e32 v49, v49, v101
	s_delay_alu instid0(VALU_DEP_1) | instskip(SKIP_1) | instid1(VALU_DEP_2)
	v_dual_add_f32 v31, v31, v86 :: v_dual_add_f32 v42, v49, v28
	v_add_f32_e32 v28, v48, v47
	v_add_f32_e32 v31, v31, v87
	s_delay_alu instid0(VALU_DEP_1) | instskip(NEXT) | instid1(VALU_DEP_1)
	v_add_f32_e32 v31, v31, v88
	v_add_f32_e32 v31, v31, v89
	s_delay_alu instid0(VALU_DEP_1) | instskip(NEXT) | instid1(VALU_DEP_1)
	v_add_f32_e32 v31, v31, v90
	v_add_f32_e32 v31, v31, v91
	s_delay_alu instid0(VALU_DEP_1)
	v_add_f32_e32 v31, v31, v92
	ds_store_2addr_b64 v46, v[30:31], v[64:65] offset1:4
	ds_store_2addr_b64 v46, v[42:43], v[93:94] offset0:8 offset1:12
	ds_store_2addr_b64 v46, v[40:41], v[26:27] offset0:16 offset1:20
	;; [unrolled: 1-line block ×5, first 2 shown]
	ds_store_b64 v46, v[175:176] offset:384
.LBB0_15:
	s_wait_alu 0xfffe
	s_or_b32 exec_lo, exec_lo, s1
	v_mad_co_u64_u32 v[40:41], null, v178, 48, s[2:3]
	global_wb scope:SCOPE_SE
	s_wait_dscnt 0x0
	s_barrier_signal -1
	s_barrier_wait -1
	global_inv scope:SCOPE_SE
	s_clause 0x2
	global_load_b128 v[28:31], v[40:41], off offset:400
	global_load_b128 v[24:27], v[40:41], off offset:416
	;; [unrolled: 1-line block ×3, first 2 shown]
	v_and_b32_e32 v44, 0xff, v80
	v_add_nc_u32_e32 v88, 0x800, v177
	v_add_nc_u32_e32 v89, 0x1000, v177
	;; [unrolled: 1-line block ×4, first 2 shown]
	v_mul_lo_u16 v44, 0x4f, v44
	s_delay_alu instid0(VALU_DEP_1) | instskip(SKIP_4) | instid1(VALU_DEP_1)
	v_lshrrev_b16 v52, 12, v44
	ds_load_2addr_b64 v[44:47], v88 offset0:56 offset1:108
	ds_load_2addr_b64 v[48:51], v89 offset0:112 offset1:164
	;; [unrolled: 1-line block ×3, first 2 shown]
	v_mul_lo_u16 v52, v52, 52
	v_sub_nc_u16 v52, v80, v52
	s_delay_alu instid0(VALU_DEP_1)
	v_and_b32_e32 v72, 0xff, v52
	s_wait_loadcnt_dscnt 0x202
	v_mul_f32_e32 v52, v45, v31
	s_wait_loadcnt_dscnt 0x101
	v_mul_f32_e32 v75, v48, v27
	v_mul_f32_e32 v55, v51, v27
	;; [unrolled: 1-line block ×4, first 2 shown]
	s_wait_loadcnt_dscnt 0x0
	v_mul_f32_e32 v105, v66, v41
	v_fmac_f32_e32 v75, v49, v26
	v_fma_f32 v84, v50, v26, -v55
	v_fma_f32 v83, v48, v26, -v54
	v_fmac_f32_e32 v80, v51, v26
	ds_load_2addr_b64 v[48:51], v94 offset0:168 offset1:220
	v_dual_fmac_f32 v105, v67, v40 :: v_dual_add_nc_u32 v90, 0x1400, v177
	v_fma_f32 v81, v44, v30, -v52
	v_mad_co_u64_u32 v[70:71], null, v72, 48, s[2:3]
	ds_load_2addr_b64 v[60:63], v90 offset0:88 offset1:140
	v_mul_f32_e32 v73, v44, v31
	v_mul_f32_e32 v53, v47, v31
	s_delay_alu instid0(VALU_DEP_2) | instskip(NEXT) | instid1(VALU_DEP_2)
	v_dual_mul_f32 v74, v46, v31 :: v_dual_fmac_f32 v73, v45, v30
	v_fma_f32 v82, v46, v30, -v53
	s_wait_dscnt 0x1
	v_mul_f32_e32 v52, v49, v43
	v_mul_f32_e32 v86, v48, v43
	;; [unrolled: 1-line block ×3, first 2 shown]
	s_delay_alu instid0(VALU_DEP_3) | instskip(SKIP_2) | instid1(VALU_DEP_3)
	v_fma_f32 v85, v48, v42, -v52
	v_mul_f32_e32 v48, v51, v43
	s_wait_dscnt 0x0
	v_dual_fmac_f32 v92, v51, v42 :: v_dual_mul_f32 v99, v62, v41
	v_fmac_f32_e32 v86, v49, v42
	s_delay_alu instid0(VALU_DEP_3) | instskip(SKIP_2) | instid1(VALU_DEP_1)
	v_fma_f32 v87, v50, v42, -v48
	ds_load_2addr_b64 v[48:51], v177 offset0:104 offset1:156
	v_fmac_f32_e32 v99, v63, v40
	v_add_f32_e32 v111, v73, v99
	s_wait_dscnt 0x0
	v_dual_sub_f32 v73, v73, v99 :: v_dual_mul_f32 v52, v51, v29
	v_mul_f32_e32 v95, v50, v29
	s_delay_alu instid0(VALU_DEP_2) | instskip(NEXT) | instid1(VALU_DEP_2)
	v_fma_f32 v93, v50, v28, -v52
	v_fmac_f32_e32 v95, v51, v28
	ds_load_2addr_b64 v[50:53], v88 offset0:160 offset1:212
	v_fmac_f32_e32 v74, v47, v30
	global_load_b128 v[44:47], v[70:71], off offset:400
	s_wait_dscnt 0x0
	v_mul_f32_e32 v97, v52, v25
	v_mul_f32_e32 v54, v53, v25
	v_add_f32_e32 v119, v74, v105
	s_delay_alu instid0(VALU_DEP_3) | instskip(NEXT) | instid1(VALU_DEP_3)
	v_fmac_f32_e32 v97, v53, v24
	v_fma_f32 v96, v52, v24, -v54
	v_mul_f32_e32 v52, v63, v41
	s_delay_alu instid0(VALU_DEP_3) | instskip(NEXT) | instid1(VALU_DEP_3)
	v_add_f32_e32 v112, v97, v75
	v_add_f32_e32 v108, v96, v83
	s_delay_alu instid0(VALU_DEP_3)
	v_fma_f32 v98, v62, v40, -v52
	ds_load_2addr_b64 v[52:55], v91 offset0:80 offset1:132
	ds_load_2addr_b64 v[62:65], v89 offset0:8 offset1:60
	v_add_f32_e32 v106, v93, v85
	v_add_f32_e32 v107, v81, v98
	v_sub_f32_e32 v81, v81, v98
	s_wait_dscnt 0x1
	v_mul_f32_e32 v56, v53, v29
	s_wait_dscnt 0x0
	v_mul_f32_e32 v103, v62, v25
	v_mul_f32_e32 v101, v52, v29
	s_delay_alu instid0(VALU_DEP_3) | instskip(NEXT) | instid1(VALU_DEP_2)
	v_fma_f32 v100, v52, v28, -v56
	v_dual_mul_f32 v52, v63, v25 :: v_dual_fmac_f32 v101, v53, v28
	ds_load_2addr_b64 v[56:59], v177 offset1:52
	v_dual_fmac_f32 v103, v63, v24 :: v_dual_add_f32 v114, v100, v87
	v_fma_f32 v102, v62, v24, -v52
	v_mul_f32_e32 v52, v67, v41
	v_add_f32_e32 v118, v101, v92
	s_wait_loadcnt 0x0
	v_dual_add_f32 v120, v103, v80 :: v_dual_mul_f32 v125, v50, v47
	s_delay_alu instid0(VALU_DEP_3) | instskip(SKIP_4) | instid1(VALU_DEP_4)
	v_fma_f32 v104, v66, v40, -v52
	v_add_f32_e32 v52, v107, v106
	v_add_f32_e32 v116, v102, v84
	v_mul_f32_e32 v123, v54, v45
	v_fmac_f32_e32 v125, v51, v46
	v_dual_add_f32 v110, v95, v86 :: v_dual_add_f32 v109, v108, v52
	v_add_f32_e32 v115, v82, v104
	s_delay_alu instid0(VALU_DEP_4) | instskip(NEXT) | instid1(VALU_DEP_3)
	v_fmac_f32_e32 v123, v55, v44
	v_add_f32_e32 v52, v111, v110
	s_wait_dscnt 0x0
	v_add_f32_e32 v62, v56, v109
	s_delay_alu instid0(VALU_DEP_2) | instskip(NEXT) | instid1(VALU_DEP_2)
	v_dual_add_f32 v113, v112, v52 :: v_dual_add_f32 v52, v115, v114
	v_fmamk_f32 v109, v109, 0xbf955555, v62
	s_delay_alu instid0(VALU_DEP_2) | instskip(NEXT) | instid1(VALU_DEP_3)
	v_add_f32_e32 v63, v57, v113
	v_dual_add_f32 v117, v116, v52 :: v_dual_add_f32 v52, v119, v118
	s_delay_alu instid0(VALU_DEP_1) | instskip(SKIP_1) | instid1(VALU_DEP_2)
	v_dual_add_f32 v66, v58, v117 :: v_dual_add_f32 v121, v120, v52
	v_mul_f32_e32 v52, v55, v45
	v_add_f32_e32 v67, v59, v121
	s_delay_alu instid0(VALU_DEP_2) | instskip(SKIP_3) | instid1(VALU_DEP_3)
	v_fma_f32 v122, v54, v44, -v52
	v_mul_f32_e32 v52, v51, v47
	v_sub_f32_e32 v51, v75, v97
	v_sub_f32_e32 v75, v108, v107
	v_fma_f32 v124, v50, v46, -v52
	s_clause 0x1
	global_load_b128 v[52:55], v[70:71], off offset:416
	global_load_b128 v[56:59], v[70:71], off offset:432
	s_wait_loadcnt 0x1
	v_dual_mul_f32 v50, v65, v53 :: v_dual_mul_f32 v71, v60, v55
	s_delay_alu instid0(VALU_DEP_1) | instskip(SKIP_2) | instid1(VALU_DEP_4)
	v_fma_f32 v70, v64, v52, -v50
	v_mul_f32_e32 v64, v64, v53
	v_mul_f32_e32 v50, v61, v55
	v_fmac_f32_e32 v71, v61, v54
	v_sub_f32_e32 v61, v110, v112
	s_delay_alu instid0(VALU_DEP_4) | instskip(NEXT) | instid1(VALU_DEP_4)
	v_fmac_f32_e32 v64, v65, v52
	v_fma_f32 v65, v60, v54, -v50
	s_wait_loadcnt 0x0
	v_mul_f32_e32 v50, v69, v57
	s_delay_alu instid0(VALU_DEP_1) | instskip(SKIP_4) | instid1(VALU_DEP_3)
	v_fma_f32 v200, v68, v56, -v50
	v_sub_f32_e32 v50, v83, v96
	v_mul_f32_e32 v68, v68, v57
	v_dual_sub_f32 v96, v51, v73 :: v_dual_sub_f32 v83, v112, v111
	v_fmamk_f32 v112, v113, 0xbf955555, v63
	v_fmac_f32_e32 v68, v69, v56
	v_sub_f32_e32 v69, v93, v85
	s_delay_alu instid0(VALU_DEP_4) | instskip(NEXT) | instid1(VALU_DEP_1)
	v_dual_sub_f32 v85, v95, v86 :: v_dual_mul_f32 v96, 0xbf08b237, v96
	v_sub_f32_e32 v97, v85, v51
	v_sub_f32_e32 v93, v50, v81
	;; [unrolled: 1-line block ×3, first 2 shown]
	v_dual_add_f32 v86, v50, v81 :: v_dual_sub_f32 v95, v69, v50
	v_mul_f32_e32 v108, 0x3f4a47b2, v61
	s_delay_alu instid0(VALU_DEP_4) | instskip(NEXT) | instid1(VALU_DEP_3)
	v_mul_f32_e32 v93, 0xbf08b237, v93
	v_dual_mul_f32 v99, 0x3f4a47b2, v60 :: v_dual_add_f32 v86, v86, v69
	v_fmamk_f32 v201, v97, 0x3eae86e6, v96
	ds_load_b64 v[60:61], v177 offset:8320
	v_fmamk_f32 v113, v95, 0x3eae86e6, v93
	v_add_f32_e32 v50, v51, v73
	global_wb scope:SCOPE_SE
	s_wait_dscnt 0x0
	s_barrier_signal -1
	s_barrier_wait -1
	v_dual_fmac_f32 v113, 0x3ee1c552, v86 :: v_dual_add_f32 v98, v50, v85
	v_fmamk_f32 v50, v75, 0x3d64c772, v99
	global_inv scope:SCOPE_SE
	v_dual_fmac_f32 v201, 0x3ee1c552, v98 :: v_dual_add_f32 v202, v50, v109
	v_fmamk_f32 v50, v83, 0x3d64c772, v108
	s_delay_alu instid0(VALU_DEP_1) | instskip(NEXT) | instid1(VALU_DEP_1)
	v_add_f32_e32 v203, v50, v112
	v_dual_sub_f32 v51, v203, v113 :: v_dual_add_f32 v50, v201, v202
	ds_store_2addr_b64 v177, v[62:63], v[50:51] offset1:52
	v_sub_f32_e32 v50, v107, v106
	v_dual_sub_f32 v62, v81, v69 :: v_dual_mul_f32 v69, 0x3d64c772, v75
	v_sub_f32_e32 v63, v73, v85
	v_sub_f32_e32 v51, v111, v110
	s_delay_alu instid0(VALU_DEP_3) | instskip(NEXT) | instid1(VALU_DEP_4)
	v_fma_f32 v73, 0x3f5ff5aa, v62, -v93
	v_fma_f32 v69, 0x3f3bfb3b, v50, -v69
	s_delay_alu instid0(VALU_DEP_4) | instskip(NEXT) | instid1(VALU_DEP_3)
	v_fma_f32 v81, 0x3f5ff5aa, v63, -v96
	v_fmac_f32_e32 v73, 0x3ee1c552, v86
	s_delay_alu instid0(VALU_DEP_3) | instskip(SKIP_2) | instid1(VALU_DEP_1)
	v_add_f32_e32 v69, v69, v109
	v_fma_f32 v50, 0xbf3bfb3b, v50, -v99
	v_mul_f32_e32 v62, 0x3f5ff5aa, v62
	v_fma_f32 v75, 0xbeae86e6, v95, -v62
	v_mul_f32_e32 v62, 0x3f5ff5aa, v63
	s_delay_alu instid0(VALU_DEP_1) | instskip(SKIP_1) | instid1(VALU_DEP_2)
	v_fma_f32 v85, 0xbeae86e6, v97, -v62
	v_dual_mul_f32 v62, 0x3d64c772, v83 :: v_dual_add_f32 v83, v50, v109
	v_fmac_f32_e32 v85, 0x3ee1c552, v98
	s_delay_alu instid0(VALU_DEP_2) | instskip(SKIP_2) | instid1(VALU_DEP_4)
	v_fma_f32 v62, 0x3f3bfb3b, v51, -v62
	v_fma_f32 v51, 0xbf3bfb3b, v51, -v108
	v_fmac_f32_e32 v75, 0x3ee1c552, v86
	v_dual_fmac_f32 v81, 0x3ee1c552, v98 :: v_dual_add_f32 v50, v85, v83
	s_delay_alu instid0(VALU_DEP_4) | instskip(NEXT) | instid1(VALU_DEP_4)
	v_add_f32_e32 v93, v62, v112
	v_add_f32_e32 v86, v51, v112
	s_delay_alu instid0(VALU_DEP_3) | instskip(NEXT) | instid1(VALU_DEP_3)
	v_sub_f32_e32 v62, v69, v81
	v_add_f32_e32 v63, v73, v93
	s_delay_alu instid0(VALU_DEP_3)
	v_sub_f32_e32 v51, v86, v75
	ds_store_2addr_b64 v177, v[50:51], v[62:63] offset0:104 offset1:156
	v_add_f32_e32 v50, v81, v69
	v_sub_f32_e32 v51, v93, v73
	v_sub_f32_e32 v62, v83, v85
	v_add_f32_e32 v63, v75, v86
	v_sub_f32_e32 v69, v84, v102
	v_sub_f32_e32 v73, v80, v103
	v_dual_sub_f32 v75, v114, v116 :: v_dual_sub_f32 v80, v116, v115
	ds_store_2addr_b64 v91, v[50:51], v[62:63] offset0:80 offset1:132
	v_dual_sub_f32 v50, v202, v201 :: v_dual_add_f32 v51, v113, v203
	v_sub_f32_e32 v62, v82, v104
	v_sub_f32_e32 v63, v74, v105
	v_dual_sub_f32 v83, v120, v119 :: v_dual_sub_f32 v74, v115, v114
	ds_store_2addr_b64 v88, v[50:51], v[66:67] offset0:56 offset1:108
	v_add_f32_e32 v84, v69, v62
	v_fmamk_f32 v66, v117, 0xbf955555, v66
	v_dual_fmamk_f32 v67, v121, 0xbf955555, v67 :: v_dual_sub_f32 v50, v100, v87
	v_sub_f32_e32 v51, v101, v92
	v_dual_sub_f32 v82, v118, v120 :: v_dual_sub_f32 v81, v119, v118
	v_sub_f32_e32 v85, v69, v62
	s_delay_alu instid0(VALU_DEP_4) | instskip(SKIP_4) | instid1(VALU_DEP_3)
	v_dual_sub_f32 v69, v50, v69 :: v_dual_add_f32 v84, v84, v50
	v_sub_f32_e32 v86, v62, v50
	v_add_f32_e32 v50, v73, v63
	v_dual_sub_f32 v62, v73, v63 :: v_dual_sub_f32 v73, v51, v73
	v_sub_f32_e32 v87, v63, v51
	v_dual_add_f32 v92, v50, v51 :: v_dual_lshlrev_b32 v201, 3, v76
	v_mul_f32_e32 v51, 0x3f4a47b2, v82
	s_delay_alu instid0(VALU_DEP_4) | instskip(SKIP_1) | instid1(VALU_DEP_3)
	v_mul_f32_e32 v82, 0xbf08b237, v62
	v_mul_f32_e32 v50, 0x3f4a47b2, v75
	v_fmamk_f32 v63, v83, 0x3d64c772, v51
	v_mul_f32_e32 v75, 0xbf08b237, v85
	v_fma_f32 v51, 0xbf3bfb3b, v81, -v51
	s_delay_alu instid0(VALU_DEP_3) | instskip(SKIP_1) | instid1(VALU_DEP_3)
	v_add_f32_e32 v96, v63, v67
	v_mul_f32_e32 v62, 0x3f5ff5aa, v86
	v_add_f32_e32 v98, v51, v67
	s_delay_alu instid0(VALU_DEP_2) | instskip(SKIP_2) | instid1(VALU_DEP_3)
	v_fma_f32 v85, 0xbeae86e6, v69, -v62
	v_mul_f32_e32 v62, 0x3f5ff5aa, v87
	v_fmamk_f32 v69, v69, 0x3eae86e6, v75
	v_fmac_f32_e32 v85, 0x3ee1c552, v84
	s_delay_alu instid0(VALU_DEP_3) | instskip(SKIP_2) | instid1(VALU_DEP_4)
	v_fma_f32 v93, 0xbeae86e6, v73, -v62
	v_fmamk_f32 v62, v80, 0x3d64c772, v50
	v_fmamk_f32 v73, v73, 0x3eae86e6, v82
	v_sub_f32_e32 v63, v98, v85
	s_delay_alu instid0(VALU_DEP_3) | instskip(SKIP_1) | instid1(VALU_DEP_4)
	v_add_f32_e32 v95, v62, v66
	v_fma_f32 v50, 0xbf3bfb3b, v74, -v50
	v_fmac_f32_e32 v73, 0x3ee1c552, v92
	v_fmac_f32_e32 v93, 0x3ee1c552, v92
	s_delay_alu instid0(VALU_DEP_3) | instskip(NEXT) | instid1(VALU_DEP_3)
	v_add_f32_e32 v97, v50, v66
	v_dual_fmac_f32 v69, 0x3ee1c552, v84 :: v_dual_add_f32 v50, v73, v95
	s_delay_alu instid0(VALU_DEP_2) | instskip(NEXT) | instid1(VALU_DEP_2)
	v_add_f32_e32 v62, v93, v97
	v_sub_f32_e32 v51, v96, v69
	ds_store_2addr_b64 v88, v[50:51], v[62:63] offset0:160 offset1:212
	v_dual_mul_f32 v50, 0x3d64c772, v80 :: v_dual_mul_f32 v51, 0x3d64c772, v83
	v_fma_f32 v63, 0x3f5ff5aa, v86, -v75
	v_fma_f32 v62, 0x3f5ff5aa, v87, -v82
	v_sub_f32_e32 v80, v124, v200
	s_delay_alu instid0(VALU_DEP_4) | instskip(SKIP_3) | instid1(VALU_DEP_3)
	v_fma_f32 v50, 0x3f3bfb3b, v74, -v50
	v_fma_f32 v51, 0x3f3bfb3b, v81, -v51
	v_fmac_f32_e32 v63, 0x3ee1c552, v84
	v_fmac_f32_e32 v62, 0x3ee1c552, v92
	v_dual_add_f32 v66, v50, v66 :: v_dual_add_f32 v67, v51, v67
	s_delay_alu instid0(VALU_DEP_1)
	v_dual_sub_f32 v50, v66, v62 :: v_dual_add_f32 v51, v63, v67
	v_dual_add_f32 v62, v62, v66 :: v_dual_sub_f32 v63, v67, v63
	ds_store_2addr_b64 v89, v[50:51], v[62:63] offset0:8 offset1:60
	v_dual_add_f32 v51, v85, v98 :: v_dual_sub_f32 v62, v95, v73
	v_sub_f32_e32 v50, v97, v93
	v_add_f32_e32 v63, v69, v96
	v_add_f32_e32 v69, v64, v71
	ds_store_2addr_b64 v89, v[50:51], v[62:63] offset0:112 offset1:164
	v_mul_f32_e32 v50, v61, v59
	v_dual_mul_f32 v51, v60, v59 :: v_dual_add_f32 v62, v70, v65
	s_delay_alu instid0(VALU_DEP_1) | instskip(SKIP_1) | instid1(VALU_DEP_4)
	v_fmac_f32_e32 v51, v61, v58
	v_add_f32_e32 v61, v124, v200
	v_fma_f32 v50, v60, v58, -v50
	v_add_f32_e32 v67, v125, v68
	v_sub_f32_e32 v68, v125, v68
	v_add_f32_e32 v66, v123, v51
	v_lshlrev_b32_e32 v200, 3, v72
	v_add_f32_e32 v60, v122, v50
	v_dual_sub_f32 v74, v122, v50 :: v_dual_sub_f32 v75, v123, v51
	v_dual_sub_f32 v50, v65, v70 :: v_dual_sub_f32 v51, v71, v64
	s_delay_alu instid0(VALU_DEP_3) | instskip(SKIP_1) | instid1(VALU_DEP_3)
	v_dual_add_f32 v63, v61, v60 :: v_dual_sub_f32 v64, v60, v62
	v_sub_f32_e32 v65, v66, v69
	v_add_f32_e32 v70, v50, v80
	v_sub_f32_e32 v71, v50, v80
	s_delay_alu instid0(VALU_DEP_4) | instskip(SKIP_3) | instid1(VALU_DEP_3)
	v_add_f32_e32 v63, v62, v63
	v_dual_sub_f32 v62, v62, v61 :: v_dual_add_f32 v73, v67, v66
	v_dual_sub_f32 v81, v74, v50 :: v_dual_add_f32 v50, v51, v68
	v_add_f32_e32 v70, v70, v74
	v_dual_mul_f32 v64, 0x3f4a47b2, v64 :: v_dual_add_f32 v73, v69, v73
	v_add_f32_e32 v48, v48, v63
	s_delay_alu instid0(VALU_DEP_4) | instskip(SKIP_1) | instid1(VALU_DEP_4)
	v_add_f32_e32 v84, v50, v75
	v_dual_sub_f32 v82, v51, v68 :: v_dual_sub_f32 v69, v69, v67
	v_add_f32_e32 v49, v49, v73
	v_dual_sub_f32 v83, v75, v51 :: v_dual_fmamk_f32 v50, v62, 0x3d64c772, v64
	s_delay_alu instid0(VALU_DEP_3) | instskip(SKIP_1) | instid1(VALU_DEP_4)
	v_mul_f32_e32 v82, 0xbf08b237, v82
	v_mul_f32_e32 v65, 0x3f4a47b2, v65
	v_fmamk_f32 v73, v73, 0xbf955555, v49
	v_add_nc_u32_e32 v72, 0x1400, v200
	s_delay_alu instid0(VALU_DEP_4) | instskip(NEXT) | instid1(VALU_DEP_1)
	v_fmamk_f32 v86, v83, 0x3eae86e6, v82
	v_fmac_f32_e32 v86, 0x3ee1c552, v84
	v_fmamk_f32 v63, v63, 0xbf955555, v48
	s_delay_alu instid0(VALU_DEP_1) | instskip(NEXT) | instid1(VALU_DEP_1)
	v_dual_add_f32 v87, v50, v63 :: v_dual_fmamk_f32 v50, v69, 0x3d64c772, v65
	v_dual_mul_f32 v71, 0xbf08b237, v71 :: v_dual_add_f32 v92, v50, v73
	s_delay_alu instid0(VALU_DEP_1) | instskip(NEXT) | instid1(VALU_DEP_1)
	v_dual_add_f32 v50, v86, v87 :: v_dual_fmamk_f32 v85, v81, 0x3eae86e6, v71
	v_fmac_f32_e32 v85, 0x3ee1c552, v70
	s_delay_alu instid0(VALU_DEP_1)
	v_sub_f32_e32 v51, v92, v85
	ds_store_2addr_b64 v72, v[48:49], v[50:51] offset0:88 offset1:140
	v_sub_f32_e32 v48, v61, v60
	v_sub_f32_e32 v50, v80, v74
	v_dual_sub_f32 v51, v68, v75 :: v_dual_mul_f32 v60, 0x3d64c772, v62
	v_sub_f32_e32 v49, v67, v66
	s_delay_alu instid0(VALU_DEP_3) | instskip(NEXT) | instid1(VALU_DEP_3)
	v_fma_f32 v61, 0x3f5ff5aa, v50, -v71
	v_fma_f32 v60, 0x3f3bfb3b, v48, -v60
	v_fma_f32 v48, 0xbf3bfb3b, v48, -v64
	v_mul_f32_e32 v50, 0x3f5ff5aa, v50
	v_fma_f32 v64, 0x3f5ff5aa, v51, -v82
	s_delay_alu instid0(VALU_DEP_4) | instskip(NEXT) | instid1(VALU_DEP_4)
	v_dual_fmac_f32 v61, 0x3ee1c552, v70 :: v_dual_add_f32 v60, v60, v63
	v_add_f32_e32 v63, v48, v63
	s_delay_alu instid0(VALU_DEP_4) | instskip(NEXT) | instid1(VALU_DEP_4)
	v_fma_f32 v62, 0xbeae86e6, v81, -v50
	v_fmac_f32_e32 v64, 0x3ee1c552, v84
	v_mul_f32_e32 v50, 0x3f5ff5aa, v51
	s_delay_alu instid0(VALU_DEP_3) | instskip(NEXT) | instid1(VALU_DEP_2)
	v_fmac_f32_e32 v62, 0x3ee1c552, v70
	v_fma_f32 v66, 0xbeae86e6, v83, -v50
	v_mul_f32_e32 v50, 0x3d64c772, v69
	s_delay_alu instid0(VALU_DEP_1) | instskip(SKIP_1) | instid1(VALU_DEP_2)
	v_fma_f32 v50, 0x3f3bfb3b, v49, -v50
	v_fma_f32 v49, 0xbf3bfb3b, v49, -v65
	v_dual_fmac_f32 v66, 0x3ee1c552, v84 :: v_dual_add_f32 v67, v50, v73
	s_delay_alu instid0(VALU_DEP_1) | instskip(SKIP_1) | instid1(VALU_DEP_3)
	v_dual_add_f32 v65, v49, v73 :: v_dual_add_f32 v48, v66, v63
	v_sub_f32_e32 v50, v60, v64
	v_dual_add_f32 v51, v61, v67 :: v_dual_add_nc_u32 v68, 0x1800, v200
	s_delay_alu instid0(VALU_DEP_3)
	v_sub_f32_e32 v49, v65, v62
	ds_store_2addr_b64 v68, v[48:49], v[50:51] offset0:64 offset1:116
	v_dual_add_f32 v51, v62, v65 :: v_dual_add_f32 v48, v64, v60
	v_lshlrev_b32_e32 v65, 3, v77
	v_sub_f32_e32 v49, v67, v61
	v_sub_f32_e32 v50, v63, v66
	ds_store_2addr_b64 v68, v[48:49], v[50:51] offset0:168 offset1:220
	v_dual_add_f32 v49, v85, v92 :: v_dual_sub_f32 v48, v87, v86
	ds_store_b64 v200, v[48:49] offset:8320
	global_wb scope:SCOPE_SE
	s_wait_dscnt 0x0
	s_barrier_signal -1
	s_barrier_wait -1
	global_inv scope:SCOPE_SE
	s_clause 0x1
	global_load_b128 v[48:51], v79, s[2:3] offset:2896
	global_load_b128 v[60:63], v185, s[2:3] offset:2896
	ds_load_2addr_b64 v[70:73], v90 offset0:88 offset1:140
	s_wait_loadcnt_dscnt 0x100
	v_mul_f32_e32 v77, v70, v51
	s_delay_alu instid0(VALU_DEP_1) | instskip(SKIP_2) | instid1(VALU_DEP_1)
	v_fmac_f32_e32 v77, v71, v50
	v_lshlrev_b32_e32 v64, 3, v78
	v_mul_f32_e32 v66, v71, v51
	v_fma_f32 v79, v70, v50, -v66
	s_clause 0x1
	global_load_b128 v[68:71], v64, s[2:3] offset:2896
	global_load_b128 v[64:67], v65, s[2:3] offset:2896
	ds_load_2addr_b64 v[84:87], v88 offset0:56 offset1:108
	s_wait_loadcnt 0x1
	v_mul_f32_e32 v74, v73, v71
	v_mul_f32_e32 v82, v72, v71
	s_delay_alu instid0(VALU_DEP_2) | instskip(NEXT) | instid1(VALU_DEP_2)
	v_fma_f32 v81, v72, v70, -v74
	v_fmac_f32_e32 v82, v73, v70
	ds_load_2addr_b64 v[72:75], v88 offset0:160 offset1:212
	s_wait_dscnt 0x0
	v_mul_f32_e32 v78, v73, v69
	v_mul_f32_e32 v92, v72, v69
	s_delay_alu instid0(VALU_DEP_2) | instskip(SKIP_2) | instid1(VALU_DEP_1)
	v_fma_f32 v83, v72, v68, -v78
	s_wait_loadcnt 0x0
	v_mul_f32_e32 v72, v75, v65
	v_fma_f32 v119, v74, v64, -v72
	v_mul_f32_e32 v72, v87, v49
	s_delay_alu instid0(VALU_DEP_1) | instskip(NEXT) | instid1(VALU_DEP_1)
	v_fma_f32 v80, v86, v48, -v72
	v_dual_sub_f32 v95, v80, v79 :: v_dual_fmac_f32 v92, v73, v68
	v_mul_f32_e32 v120, v74, v65
	s_delay_alu instid0(VALU_DEP_1) | instskip(SKIP_2) | instid1(VALU_DEP_1)
	v_fmac_f32_e32 v120, v75, v64
	ds_load_2addr_b64 v[72:75], v177 offset1:52
	v_mul_f32_e32 v78, v86, v49
	v_fmac_f32_e32 v78, v87, v48
	s_delay_alu instid0(VALU_DEP_1) | instskip(SKIP_2) | instid1(VALU_DEP_2)
	v_add_f32_e32 v93, v78, v77
	s_wait_dscnt 0x0
	v_dual_sub_f32 v87, v78, v77 :: v_dual_add_f32 v86, v73, v78
	v_fma_f32 v73, -0.5, v93, v73
	s_delay_alu instid0(VALU_DEP_2) | instskip(SKIP_1) | instid1(VALU_DEP_3)
	v_add_f32_e32 v78, v86, v77
	v_add_f32_e32 v86, v80, v79
	v_dual_add_f32 v77, v72, v80 :: v_dual_fmamk_f32 v80, v95, 0xbf5db3d7, v73
	v_fmac_f32_e32 v73, 0x3f5db3d7, v95
	ds_load_2addr_b64 v[95:98], v94 offset0:64 offset1:116
	ds_load_2addr_b64 v[99:102], v89 offset0:8 offset1:60
	;; [unrolled: 1-line block ×6, first 2 shown]
	v_fma_f32 v72, -0.5, v86, v72
	v_add_f32_e32 v77, v77, v79
	s_delay_alu instid0(VALU_DEP_2)
	v_fmamk_f32 v79, v87, 0x3f5db3d7, v72
	v_fmac_f32_e32 v72, 0xbf5db3d7, v87
	ds_store_b64 v177, v[79:80] offset:2912
	ds_store_b64 v177, v[72:73] offset:5824
	v_dual_add_f32 v72, v74, v83 :: v_dual_add_f32 v73, v75, v92
	ds_load_b64 v[86:87], v177 offset:8320
	s_wait_dscnt 0x8
	v_mul_f32_e32 v122, v95, v67
	v_dual_add_f32 v72, v72, v81 :: v_dual_add_f32 v73, v73, v82
	s_delay_alu instid0(VALU_DEP_2) | instskip(SKIP_3) | instid1(VALU_DEP_2)
	v_fmac_f32_e32 v122, v96, v66
	ds_store_2addr_b64 v177, v[77:78], v[72:73] offset1:52
	v_add_f32_e32 v73, v83, v81
	v_dual_sub_f32 v77, v92, v82 :: v_dual_sub_f32 v78, v83, v81
	v_fma_f32 v74, -0.5, v73, v74
	v_add_f32_e32 v73, v120, v122
	s_wait_dscnt 0x5
	s_delay_alu instid0(VALU_DEP_1)
	v_fma_f32 v73, -0.5, v73, v112
	v_add_f32_e32 v72, v92, v82
	global_load_b128 v[80:83], v201, s[2:3] offset:2896
	v_fmamk_f32 v92, v77, 0x3f5db3d7, v74
	v_dual_fmac_f32 v74, 0xbf5db3d7, v77 :: v_dual_sub_f32 v77, v120, v122
	v_dual_fmac_f32 v75, -0.5, v72 :: v_dual_mul_f32 v72, v96, v67
	s_delay_alu instid0(VALU_DEP_1) | instskip(NEXT) | instid1(VALU_DEP_2)
	v_fmamk_f32 v93, v78, 0xbf5db3d7, v75
	v_fma_f32 v121, v95, v66, -v72
	s_delay_alu instid0(VALU_DEP_1) | instskip(NEXT) | instid1(VALU_DEP_1)
	v_dual_fmac_f32 v75, 0x3f5db3d7, v78 :: v_dual_add_f32 v72, v119, v121
	v_fma_f32 v72, -0.5, v72, v111
	s_delay_alu instid0(VALU_DEP_1) | instskip(SKIP_2) | instid1(VALU_DEP_1)
	v_fmamk_f32 v95, v77, 0x3f5db3d7, v72
	v_fmac_f32_e32 v72, 0xbf5db3d7, v77
	v_sub_f32_e32 v77, v119, v121
	v_fmamk_f32 v96, v77, 0xbf5db3d7, v73
	v_fmac_f32_e32 v73, 0x3f5db3d7, v77
	ds_store_2addr_b64 v94, v[74:75], v[72:73] offset0:12 offset1:64
	s_wait_loadcnt 0x0
	v_mul_f32_e32 v72, v98, v83
	s_delay_alu instid0(VALU_DEP_1) | instskip(SKIP_1) | instid1(VALU_DEP_1)
	v_fma_f32 v123, v97, v82, -v72
	v_dual_mul_f32 v97, v97, v83 :: v_dual_mul_f32 v72, v100, v81
	v_fmac_f32_e32 v97, v98, v82
	s_delay_alu instid0(VALU_DEP_2)
	v_fma_f32 v98, v99, v80, -v72
	s_clause 0x1
	global_load_b128 v[76:79], v129, s[2:3] offset:2896
	global_load_b128 v[72:75], v183, s[2:3] offset:2896
	v_mul_f32_e32 v99, v99, v81
	s_add_nc_u64 s[2:3], s[16:17], 0x2220
	s_wait_loadcnt 0x1
	s_delay_alu instid0(VALU_DEP_1) | instskip(NEXT) | instid1(VALU_DEP_1)
	v_dual_fmac_f32 v99, v100, v80 :: v_dual_mul_f32 v100, v102, v77
	v_fma_f32 v100, v101, v76, -v100
	v_mul_f32_e32 v101, v101, v77
	s_delay_alu instid0(VALU_DEP_1) | instskip(NEXT) | instid1(VALU_DEP_1)
	v_dual_fmac_f32 v101, v102, v76 :: v_dual_mul_f32 v102, v104, v79
	v_fma_f32 v102, v103, v78, -v102
	v_mul_f32_e32 v103, v103, v79
	ds_store_2addr_b64 v88, v[92:93], v[95:96] offset0:160 offset1:212
	v_dual_add_f32 v92, v111, v119 :: v_dual_add_f32 v93, v112, v120
	v_dual_add_f32 v95, v113, v98 :: v_dual_add_f32 v96, v114, v99
	v_fmac_f32_e32 v103, v104, v78
	s_delay_alu instid0(VALU_DEP_3) | instskip(NEXT) | instid1(VALU_DEP_3)
	v_dual_add_f32 v92, v92, v121 :: v_dual_add_f32 v93, v93, v122
	v_dual_add_f32 v95, v95, v123 :: v_dual_add_f32 v96, v96, v97
	ds_store_2addr_b64 v177, v[92:93], v[95:96] offset0:104 offset1:156
	v_dual_add_f32 v95, v98, v123 :: v_dual_add_f32 v92, v99, v97
	v_dual_sub_f32 v93, v99, v97 :: v_dual_add_f32 v96, v101, v103
	v_sub_f32_e32 v99, v101, v103
	s_delay_alu instid0(VALU_DEP_3)
	v_fma_f32 v113, -0.5, v95, v113
	s_wait_loadcnt 0x0
	v_mul_f32_e32 v104, v106, v75
	v_dual_sub_f32 v95, v98, v123 :: v_dual_fmac_f32 v114, -0.5, v92
	s_wait_dscnt 0x7
	v_fma_f32 v96, -0.5, v96, v116
	v_fmamk_f32 v92, v93, 0x3f5db3d7, v113
	v_fmac_f32_e32 v113, 0xbf5db3d7, v93
	v_fma_f32 v104, v105, v74, -v104
	v_mul_f32_e32 v105, v105, v75
	v_fmamk_f32 v93, v95, 0xbf5db3d7, v114
	v_dual_fmac_f32 v114, 0x3f5db3d7, v95 :: v_dual_add_f32 v95, v100, v102
	s_delay_alu instid0(VALU_DEP_3) | instskip(SKIP_1) | instid1(VALU_DEP_3)
	v_fmac_f32_e32 v105, v106, v74
	v_sub_f32_e32 v106, v100, v102
	v_fma_f32 v95, -0.5, v95, v115
	s_delay_alu instid0(VALU_DEP_2) | instskip(NEXT) | instid1(VALU_DEP_2)
	v_fmamk_f32 v98, v106, 0xbf5db3d7, v96
	v_fmamk_f32 v97, v99, 0x3f5db3d7, v95
	v_fmac_f32_e32 v95, 0xbf5db3d7, v99
	ds_store_b64 v177, v[113:114] offset:7072
	ds_store_2addr_b64 v89, v[92:93], v[97:98] offset0:8 offset1:60
	v_mul_f32_e32 v92, v108, v73
	s_delay_alu instid0(VALU_DEP_1) | instskip(NEXT) | instid1(VALU_DEP_1)
	v_fma_f32 v93, v107, v72, -v92
	v_add_f32_e32 v92, v93, v104
	v_add_f32_e32 v97, v117, v93
	s_delay_alu instid0(VALU_DEP_2) | instskip(NEXT) | instid1(VALU_DEP_2)
	v_fma_f32 v117, -0.5, v92, v117
	v_dual_mul_f32 v92, v107, v73 :: v_dual_add_f32 v97, v97, v104
	s_delay_alu instid0(VALU_DEP_1) | instskip(NEXT) | instid1(VALU_DEP_1)
	v_fmac_f32_e32 v92, v108, v72
	v_dual_add_f32 v98, v92, v105 :: v_dual_add_f32 v107, v118, v92
	s_delay_alu instid0(VALU_DEP_1) | instskip(SKIP_1) | instid1(VALU_DEP_1)
	v_fmac_f32_e32 v118, -0.5, v98
	v_sub_f32_e32 v98, v92, v105
	v_fmamk_f32 v92, v98, 0x3f5db3d7, v117
	v_dual_fmac_f32 v117, 0xbf5db3d7, v98 :: v_dual_sub_f32 v98, v93, v104
	s_delay_alu instid0(VALU_DEP_1) | instskip(SKIP_2) | instid1(VALU_DEP_1)
	v_fmamk_f32 v93, v98, 0xbf5db3d7, v118
	v_fmac_f32_e32 v118, 0x3f5db3d7, v98
	v_mul_f32_e32 v98, v110, v61
	v_fma_f32 v99, v109, v60, -v98
	v_fmac_f32_e32 v96, 0x3f5db3d7, v106
	v_add_f32_e32 v98, v107, v105
	ds_store_2addr_b64 v94, v[95:96], v[117:118] offset0:168 offset1:220
	v_dual_add_f32 v95, v115, v100 :: v_dual_add_f32 v96, v116, v101
	s_delay_alu instid0(VALU_DEP_1) | instskip(NEXT) | instid1(VALU_DEP_2)
	v_dual_mul_f32 v100, v109, v61 :: v_dual_add_f32 v95, v95, v102
	v_add_f32_e32 v96, v96, v103
	s_delay_alu instid0(VALU_DEP_2)
	v_fmac_f32_e32 v100, v110, v60
	ds_store_2addr_b64 v91, v[95:96], v[97:98] offset0:80 offset1:132
	s_wait_dscnt 0x8
	v_mul_f32_e32 v95, v87, v63
	v_mul_f32_e32 v96, v86, v63
	v_dual_add_f32 v97, v84, v99 :: v_dual_add_f32 v98, v85, v100
	s_delay_alu instid0(VALU_DEP_3) | instskip(NEXT) | instid1(VALU_DEP_3)
	v_fma_f32 v95, v86, v62, -v95
	v_fmac_f32_e32 v96, v87, v62
	s_delay_alu instid0(VALU_DEP_2) | instskip(SKIP_1) | instid1(VALU_DEP_2)
	v_add_f32_e32 v86, v99, v95
	v_sub_f32_e32 v99, v99, v95
	v_fma_f32 v84, -0.5, v86, v84
	s_delay_alu instid0(VALU_DEP_4) | instskip(NEXT) | instid1(VALU_DEP_1)
	v_add_f32_e32 v86, v100, v96
	v_dual_sub_f32 v100, v100, v96 :: v_dual_fmac_f32 v85, -0.5, v86
	s_delay_alu instid0(VALU_DEP_1) | instskip(NEXT) | instid1(VALU_DEP_2)
	v_fmamk_f32 v86, v100, 0x3f5db3d7, v84
	v_dual_fmac_f32 v84, 0xbf5db3d7, v100 :: v_dual_fmamk_f32 v87, v99, 0xbf5db3d7, v85
	v_fmac_f32_e32 v85, 0x3f5db3d7, v99
	ds_store_2addr_b64 v89, v[92:93], v[86:87] offset0:112 offset1:164
	v_dual_add_f32 v86, v97, v95 :: v_dual_add_f32 v87, v98, v96
	ds_store_b64 v177, v[84:85] offset:8320
	ds_store_b64 v177, v[86:87] offset:2496
	global_wb scope:SCOPE_SE
	s_wait_dscnt 0x0
	s_barrier_signal -1
	s_barrier_wait -1
	global_inv scope:SCOPE_SE
	s_clause 0x3
	global_load_b64 v[86:87], v[130:131], off offset:8736
	global_load_b64 v[92:93], v177, s[2:3] offset:416
	global_load_b64 v[99:100], v177, s[2:3] offset:832
	;; [unrolled: 1-line block ×3, first 2 shown]
	ds_load_2addr_b64 v[95:98], v177 offset1:52
	s_wait_loadcnt_dscnt 0x300
	v_mul_f32_e32 v103, v96, v87
	s_wait_loadcnt 0x2
	v_dual_mul_f32 v104, v95, v87 :: v_dual_mul_f32 v87, v97, v93
	s_delay_alu instid0(VALU_DEP_2) | instskip(NEXT) | instid1(VALU_DEP_2)
	v_fma_f32 v103, v95, v86, -v103
	v_fmac_f32_e32 v104, v96, v86
	v_mul_f32_e32 v86, v98, v93
	s_delay_alu instid0(VALU_DEP_4)
	v_fmac_f32_e32 v87, v98, v92
	ds_store_b64 v177, v[103:104]
	v_fma_f32 v86, v97, v92, -v86
	s_clause 0x2
	global_load_b64 v[92:93], v177, s[2:3] offset:4368
	global_load_b64 v[103:104], v177, s[2:3] offset:4784
	global_load_b64 v[105:106], v177, s[2:3] offset:3744
	ds_load_2addr_b64 v[95:98], v89 offset0:34 offset1:86
	s_wait_loadcnt_dscnt 0x200
	v_mul_f32_e32 v107, v96, v93
	s_wait_loadcnt 0x1
	v_dual_mul_f32 v108, v95, v93 :: v_dual_mul_f32 v93, v97, v104
	s_delay_alu instid0(VALU_DEP_2) | instskip(NEXT) | instid1(VALU_DEP_2)
	v_fma_f32 v107, v95, v92, -v107
	v_fmac_f32_e32 v108, v96, v92
	v_mul_f32_e32 v92, v98, v104
	s_delay_alu instid0(VALU_DEP_4) | instskip(NEXT) | instid1(VALU_DEP_2)
	v_fmac_f32_e32 v93, v98, v103
	v_fma_f32 v92, v97, v103, -v92
	ds_load_2addr_b64 v[95:98], v177 offset0:104 offset1:156
	s_wait_dscnt 0x0
	v_mul_f32_e32 v103, v96, v100
	v_mul_f32_e32 v104, v95, v100
	;; [unrolled: 1-line block ×3, first 2 shown]
	s_delay_alu instid0(VALU_DEP_3) | instskip(NEXT) | instid1(VALU_DEP_3)
	v_fma_f32 v103, v95, v99, -v103
	v_dual_mul_f32 v95, v98, v102 :: v_dual_fmac_f32 v104, v96, v99
	s_delay_alu instid0(VALU_DEP_3) | instskip(NEXT) | instid1(VALU_DEP_2)
	v_fmac_f32_e32 v100, v98, v101
	v_fma_f32 v99, v97, v101, -v95
	s_clause 0x3
	global_load_b64 v[101:102], v177, s[2:3] offset:5200
	global_load_b64 v[109:110], v177, s[2:3] offset:5616
	;; [unrolled: 1-line block ×4, first 2 shown]
	ds_load_2addr_b64 v[95:98], v89 offset0:138 offset1:190
	s_wait_loadcnt_dscnt 0x300
	v_mul_f32_e32 v115, v96, v102
	v_mul_f32_e32 v116, v95, v102
	s_wait_loadcnt 0x2
	v_mul_f32_e32 v102, v97, v110
	s_delay_alu instid0(VALU_DEP_3) | instskip(NEXT) | instid1(VALU_DEP_3)
	v_fma_f32 v115, v95, v101, -v115
	v_dual_mul_f32 v95, v98, v110 :: v_dual_fmac_f32 v116, v96, v101
	s_delay_alu instid0(VALU_DEP_3) | instskip(NEXT) | instid1(VALU_DEP_2)
	v_fmac_f32_e32 v102, v98, v109
	v_fma_f32 v101, v97, v109, -v95
	s_clause 0x3
	global_load_b64 v[109:110], v177, s[2:3] offset:1664
	global_load_b64 v[117:118], v177, s[2:3] offset:2080
	;; [unrolled: 1-line block ×4, first 2 shown]
	ds_load_2addr_b64 v[95:98], v91 offset0:80 offset1:132
	s_wait_loadcnt_dscnt 0x300
	v_mul_f32_e32 v123, v96, v110
	v_mul_f32_e32 v124, v95, v110
	s_wait_loadcnt 0x2
	v_mul_f32_e32 v110, v97, v118
	s_delay_alu instid0(VALU_DEP_3) | instskip(NEXT) | instid1(VALU_DEP_3)
	v_fma_f32 v123, v95, v109, -v123
	v_dual_mul_f32 v95, v98, v118 :: v_dual_fmac_f32 v124, v96, v109
	s_delay_alu instid0(VALU_DEP_3) | instskip(NEXT) | instid1(VALU_DEP_2)
	v_fmac_f32_e32 v110, v98, v117
	v_fma_f32 v109, v97, v117, -v95
	ds_load_2addr_b64 v[95:98], v90 offset0:114 offset1:166
	s_wait_dscnt 0x0
	v_mul_f32_e32 v117, v96, v112
	v_mul_f32_e32 v118, v95, v112
	;; [unrolled: 1-line block ×3, first 2 shown]
	s_delay_alu instid0(VALU_DEP_3) | instskip(NEXT) | instid1(VALU_DEP_3)
	v_fma_f32 v117, v95, v111, -v117
	v_dual_mul_f32 v95, v98, v114 :: v_dual_fmac_f32 v118, v96, v111
	s_delay_alu instid0(VALU_DEP_3) | instskip(NEXT) | instid1(VALU_DEP_2)
	v_fmac_f32_e32 v112, v98, v113
	v_fma_f32 v111, v97, v113, -v95
	ds_load_2addr_b64 v[95:98], v88 offset0:56 offset1:108
	s_wait_loadcnt_dscnt 0x100
	v_mul_f32_e32 v113, v96, v120
	v_mul_f32_e32 v114, v95, v120
	s_wait_loadcnt 0x0
	v_mul_f32_e32 v120, v97, v122
	s_delay_alu instid0(VALU_DEP_3) | instskip(NEXT) | instid1(VALU_DEP_3)
	v_fma_f32 v113, v95, v119, -v113
	v_dual_mul_f32 v95, v98, v122 :: v_dual_fmac_f32 v114, v96, v119
	s_delay_alu instid0(VALU_DEP_3) | instskip(NEXT) | instid1(VALU_DEP_2)
	v_fmac_f32_e32 v120, v98, v121
	v_fma_f32 v119, v97, v121, -v95
	s_clause 0x3
	global_load_b64 v[121:122], v177, s[2:3] offset:6864
	global_load_b64 v[202:203], v177, s[2:3] offset:7280
	;; [unrolled: 1-line block ×4, first 2 shown]
	ds_load_2addr_b64 v[95:98], v94 offset0:90 offset1:142
	s_wait_loadcnt_dscnt 0x300
	v_mul_f32_e32 v125, v96, v122
	s_wait_loadcnt 0x2
	v_dual_mul_f32 v209, v95, v122 :: v_dual_mul_f32 v122, v97, v203
	s_delay_alu instid0(VALU_DEP_2) | instskip(SKIP_1) | instid1(VALU_DEP_3)
	v_fma_f32 v208, v95, v121, -v125
	v_mul_f32_e32 v95, v98, v203
	v_dual_fmac_f32 v209, v96, v121 :: v_dual_fmac_f32 v122, v98, v202
	s_delay_alu instid0(VALU_DEP_2)
	v_fma_f32 v121, v97, v202, -v95
	global_load_b64 v[202:203], v177, s[2:3] offset:3328
	ds_load_2addr_b64 v[95:98], v88 offset0:160 offset1:212
	s_wait_loadcnt_dscnt 0x0
	v_mul_f32_e32 v125, v96, v203
	v_mul_f32_e32 v211, v95, v203
	;; [unrolled: 1-line block ×3, first 2 shown]
	s_delay_alu instid0(VALU_DEP_3) | instskip(SKIP_1) | instid1(VALU_DEP_4)
	v_fma_f32 v210, v95, v202, -v125
	v_mul_f32_e32 v95, v98, v106
	v_fmac_f32_e32 v211, v96, v202
	s_delay_alu instid0(VALU_DEP_4) | instskip(NEXT) | instid1(VALU_DEP_3)
	v_fmac_f32_e32 v203, v98, v105
	v_fma_f32 v202, v97, v105, -v95
	ds_load_2addr_b64 v[95:98], v94 offset0:194 offset1:246
	s_wait_dscnt 0x0
	v_mul_f32_e32 v105, v96, v205
	v_mul_f32_e32 v106, v95, v205
	s_delay_alu instid0(VALU_DEP_2) | instskip(NEXT) | instid1(VALU_DEP_2)
	v_fma_f32 v105, v95, v204, -v105
	v_dual_mul_f32 v95, v98, v207 :: v_dual_fmac_f32 v106, v96, v204
	v_mul_f32_e32 v96, v97, v207
	s_delay_alu instid0(VALU_DEP_2) | instskip(NEXT) | instid1(VALU_DEP_2)
	v_fma_f32 v95, v97, v206, -v95
	v_dual_fmac_f32 v96, v98, v206 :: v_dual_add_nc_u32 v97, 0xc00, v177
	ds_store_2addr_b64 v97, v[202:203], v[107:108] offset0:84 offset1:162
	ds_store_2addr_b64 v177, v[86:87], v[103:104] offset0:52 offset1:104
	ds_store_2addr_b64 v89, v[92:93], v[115:116] offset0:86 offset1:138
	ds_store_2addr_b64 v177, v[99:100], v[123:124] offset0:156 offset1:208
	ds_store_2addr_b64 v89, v[101:102], v[117:118] offset0:190 offset1:242
	ds_store_2addr_b64 v88, v[109:110], v[113:114] offset0:4 offset1:56
	ds_store_2addr_b64 v94, v[111:112], v[208:209] offset0:38 offset1:90
	ds_store_2addr_b64 v88, v[119:120], v[210:211] offset0:108 offset1:160
	ds_store_2addr_b64 v94, v[121:122], v[105:106] offset0:142 offset1:194
	ds_store_b64 v177, v[95:96] offset:8112
	s_and_saveexec_b32 s1, vcc_lo
	s_cbranch_execz .LBB0_17
; %bb.16:
	s_wait_alu 0xfffe
	v_add_co_u32 v86, s2, s2, v177
	s_wait_alu 0xf1ff
	v_add_co_ci_u32_e64 v87, null, s3, 0, s2
	s_clause 0x1
	global_load_b64 v[92:93], v[86:87], off offset:4160
	global_load_b64 v[86:87], v[86:87], off offset:8528
	ds_load_b64 v[95:96], v177 offset:4160
	ds_load_b64 v[97:98], v177 offset:8528
	s_wait_loadcnt_dscnt 0x101
	v_mul_f32_e32 v99, v96, v93
	s_wait_loadcnt_dscnt 0x0
	v_dual_mul_f32 v100, v95, v93 :: v_dual_mul_f32 v101, v98, v87
	v_mul_f32_e32 v93, v97, v87
	s_delay_alu instid0(VALU_DEP_3) | instskip(NEXT) | instid1(VALU_DEP_3)
	v_fma_f32 v99, v95, v92, -v99
	v_fmac_f32_e32 v100, v96, v92
	s_delay_alu instid0(VALU_DEP_4) | instskip(NEXT) | instid1(VALU_DEP_4)
	v_fma_f32 v92, v97, v86, -v101
	v_fmac_f32_e32 v93, v98, v86
	ds_store_b64 v177, v[99:100] offset:4160
	ds_store_b64 v177, v[92:93] offset:8528
.LBB0_17:
	s_wait_alu 0xfffe
	s_or_b32 exec_lo, exec_lo, s1
	global_wb scope:SCOPE_SE
	s_wait_dscnt 0x0
	s_barrier_signal -1
	s_barrier_wait -1
	global_inv scope:SCOPE_SE
	ds_load_2addr_b64 v[110:113], v177 offset1:52
	ds_load_2addr_b64 v[122:125], v89 offset0:34 offset1:86
	ds_load_2addr_b64 v[102:105], v177 offset0:104 offset1:156
	;; [unrolled: 1-line block ×9, first 2 shown]
	v_lshlrev_b32_e32 v202, 3, v196
	v_lshlrev_b32_e32 v197, 3, v197
	;; [unrolled: 1-line block ×3, first 2 shown]
	s_and_saveexec_b32 s1, vcc_lo
	s_cbranch_execz .LBB0_19
; %bb.18:
	ds_load_b64 v[84:85], v177 offset:4160
	ds_load_b64 v[32:33], v177 offset:8528
.LBB0_19:
	s_wait_alu 0xfffe
	s_or_b32 exec_lo, exec_lo, s1
	s_wait_dscnt 0x8
	v_dual_sub_f32 v124, v112, v124 :: v_dual_sub_f32 v125, v113, v125
	s_wait_dscnt 0x2
	v_dual_sub_f32 v213, v92, v108 :: v_dual_sub_f32 v214, v93, v109
	v_dual_sub_f32 v205, v110, v122 :: v_dual_sub_f32 v206, v111, v123
	;; [unrolled: 1-line block ×3, first 2 shown]
	v_fma_f32 v122, v112, 2.0, -v124
	v_sub_f32_e32 v112, v104, v120
	v_fma_f32 v123, v113, 2.0, -v125
	v_dual_sub_f32 v113, v105, v121 :: v_dual_sub_f32 v106, v90, v106
	v_sub_f32_e32 v107, v91, v107
	v_fma_f32 v211, v92, 2.0, -v213
	v_fma_f32 v212, v93, 2.0, -v214
	s_wait_dscnt 0x0
	v_dual_sub_f32 v92, v84, v32 :: v_dual_sub_f32 v93, v85, v33
	v_dual_sub_f32 v118, v98, v114 :: v_dual_sub_f32 v119, v99, v115
	v_fma_f32 v203, v110, 2.0, -v205
	v_fma_f32 v204, v111, 2.0, -v206
	;; [unrolled: 1-line block ×5, first 2 shown]
	v_dual_sub_f32 v102, v100, v116 :: v_dual_sub_f32 v103, v101, v117
	v_fma_f32 v111, v105, 2.0, -v113
	v_fma_f32 v104, v90, 2.0, -v106
	v_dual_sub_f32 v217, v86, v94 :: v_dual_sub_f32 v218, v87, v95
	v_fma_f32 v105, v91, 2.0, -v107
	v_dual_sub_f32 v96, v88, v96 :: v_dual_sub_f32 v97, v89, v97
	v_fma_f32 v90, v84, 2.0, -v92
	v_fma_f32 v91, v85, 2.0, -v93
	;; [unrolled: 1-line block ×10, first 2 shown]
	global_wb scope:SCOPE_SE
	s_barrier_signal -1
	s_barrier_wait -1
	global_inv scope:SCOPE_SE
	ds_store_b128 v126, v[203:206]
	ds_store_b128 v127, v[122:125]
	;; [unrolled: 1-line block ×10, first 2 shown]
	s_and_saveexec_b32 s1, vcc_lo
	s_cbranch_execz .LBB0_21
; %bb.20:
	ds_store_b128 v184, v[90:93]
.LBB0_21:
	s_wait_alu 0xfffe
	s_or_b32 exec_lo, exec_lo, s1
	v_add_nc_u32_e32 v32, 0x1000, v177
	v_add_nc_u32_e32 v33, 0x400, v177
	;; [unrolled: 1-line block ×5, first 2 shown]
	global_wb scope:SCOPE_SE
	s_wait_dscnt 0x0
	s_barrier_signal -1
	s_barrier_wait -1
	global_inv scope:SCOPE_SE
	ds_load_2addr_b64 v[94:97], v177 offset1:52
	ds_load_2addr_b64 v[122:125], v32 offset0:34 offset1:86
	ds_load_2addr_b64 v[84:87], v177 offset0:104 offset1:156
	;; [unrolled: 1-line block ×9, first 2 shown]
	s_and_saveexec_b32 s1, vcc_lo
	s_cbranch_execz .LBB0_23
; %bb.22:
	ds_load_b64 v[90:91], v177 offset:4160
	ds_load_b64 v[92:93], v177 offset:8528
.LBB0_23:
	s_wait_alu 0xfffe
	s_or_b32 exec_lo, exec_lo, s1
	s_wait_dscnt 0x0
	v_mul_f32_e32 v197, v174, v113
	v_mul_f32_e32 v88, v174, v125
	;; [unrolled: 1-line block ×4, first 2 shown]
	s_delay_alu instid0(VALU_DEP_4) | instskip(NEXT) | instid1(VALU_DEP_4)
	v_dual_mul_f32 v202, v174, v93 :: v_dual_fmac_f32 v197, v173, v112
	v_dual_mul_f32 v33, v174, v122 :: v_dual_fmac_f32 v88, v173, v124
	s_delay_alu instid0(VALU_DEP_4) | instskip(NEXT) | instid1(VALU_DEP_4)
	v_fmac_f32_e32 v184, v173, v116
	v_dual_mul_f32 v32, v174, v123 :: v_dual_fmac_f32 v183, v173, v114
	v_mul_f32_e32 v89, v174, v124
	s_delay_alu instid0(VALU_DEP_4)
	v_fma_f32 v33, v173, v123, -v33
	v_mul_f32_e32 v124, v174, v129
	v_mul_f32_e32 v123, v174, v126
	v_fmac_f32_e32 v32, v173, v122
	v_mul_f32_e32 v122, v174, v127
	v_fma_f32 v89, v173, v125, -v89
	v_mul_f32_e32 v125, v174, v128
	v_fmac_f32_e32 v124, v173, v128
	v_fma_f32 v123, v173, v127, -v123
	v_fmac_f32_e32 v122, v173, v126
	v_mul_f32_e32 v128, v174, v121
	v_mul_f32_e32 v127, v174, v118
	;; [unrolled: 1-line block ×3, first 2 shown]
	v_fmac_f32_e32 v202, v173, v92
	v_fma_f32 v125, v173, v129, -v125
	v_fmac_f32_e32 v128, v173, v120
	v_fma_f32 v127, v173, v119, -v127
	v_mul_f32_e32 v119, v174, v114
	global_wb scope:SCOPE_SE
	s_barrier_signal -1
	v_dual_sub_f32 v128, v108, v128 :: v_dual_sub_f32 v127, v107, v127
	v_fma_f32 v185, v173, v115, -v119
	v_mul_f32_e32 v115, v174, v110
	v_mul_f32_e32 v196, v174, v111
	s_delay_alu instid0(VALU_DEP_4)
	v_fma_f32 v108, v108, 2.0, -v128
	v_fma_f32 v107, v107, 2.0, -v127
	s_barrier_wait -1
	v_fma_f32 v201, v173, v111, -v115
	v_sub_f32_e32 v115, v97, v89
	v_dual_fmac_f32 v126, v173, v118 :: v_dual_mul_f32 v111, v174, v112
	v_mul_f32_e32 v118, v174, v120
	v_mul_f32_e32 v112, v174, v92
	v_sub_f32_e32 v120, v86, v124
	v_fma_f32 v119, v97, 2.0, -v115
	v_sub_f32_e32 v126, v106, v126
	v_fma_f32 v129, v173, v121, -v118
	v_mul_f32_e32 v114, v174, v116
	v_dual_sub_f32 v116, v84, v122 :: v_dual_sub_f32 v121, v87, v125
	v_fma_f32 v124, v86, 2.0, -v120
	s_delay_alu instid0(VALU_DEP_4) | instskip(NEXT) | instid1(VALU_DEP_4)
	v_sub_f32_e32 v129, v109, v129
	v_fma_f32 v198, v173, v117, -v114
	v_dual_sub_f32 v117, v85, v123 :: v_dual_sub_f32 v114, v96, v88
	v_sub_f32_e32 v88, v100, v197
	v_fma_f32 v122, v84, 2.0, -v116
	s_delay_alu instid0(VALU_DEP_4) | instskip(NEXT) | instid1(VALU_DEP_4)
	v_sub_f32_e32 v97, v105, v198
	v_fma_f32 v123, v85, 2.0, -v117
	v_dual_sub_f32 v85, v103, v185 :: v_dual_fmac_f32 v196, v173, v110
	v_sub_f32_e32 v110, v94, v32
	v_fma_f32 v32, v173, v113, -v111
	v_sub_f32_e32 v111, v95, v33
	v_fma_f32 v33, v173, v93, -v112
	v_fma_f32 v118, v96, 2.0, -v114
	v_sub_f32_e32 v96, v104, v184
	v_dual_sub_f32 v92, v98, v196 :: v_dual_sub_f32 v93, v99, v201
	s_delay_alu instid0(VALU_DEP_4)
	v_sub_f32_e32 v33, v91, v33
	v_dual_sub_f32 v89, v101, v32 :: v_dual_sub_f32 v32, v90, v202
	v_fma_f32 v112, v94, 2.0, -v110
	v_fma_f32 v113, v95, 2.0, -v111
	;; [unrolled: 1-line block ×3, first 2 shown]
	v_sub_f32_e32 v84, v102, v183
	v_fma_f32 v86, v104, 2.0, -v96
	v_fma_f32 v87, v105, 2.0, -v97
	;; [unrolled: 1-line block ×12, first 2 shown]
	global_inv scope:SCOPE_SE
	ds_store_2addr_b64 v195, v[112:113], v[110:111] offset1:2
	ds_store_2addr_b64 v194, v[118:119], v[114:115] offset1:2
	;; [unrolled: 1-line block ×10, first 2 shown]
	s_and_saveexec_b32 s1, vcc_lo
	s_cbranch_execz .LBB0_25
; %bb.24:
	v_and_or_b32 v100, 0x47c, v182, v180
	s_delay_alu instid0(VALU_DEP_1)
	v_lshlrev_b32_e32 v100, 3, v100
	ds_store_2addr_b64 v100, v[90:91], v[32:33] offset1:2
.LBB0_25:
	s_wait_alu 0xfffe
	s_or_b32 exec_lo, exec_lo, s1
	v_add_nc_u32_e32 v126, 0x800, v177
	v_add_nc_u32_e32 v104, 0xc00, v177
	;; [unrolled: 1-line block ×4, first 2 shown]
	global_wb scope:SCOPE_SE
	s_wait_dscnt 0x0
	s_barrier_signal -1
	s_barrier_wait -1
	global_inv scope:SCOPE_SE
	ds_load_2addr_b64 v[100:103], v177 offset1:84
	ds_load_2addr_b64 v[120:123], v177 offset0:168 offset1:252
	ds_load_2addr_b64 v[116:119], v126 offset0:80 offset1:164
	;; [unrolled: 1-line block ×5, first 2 shown]
	ds_load_b64 v[124:125], v177 offset:8064
	s_and_saveexec_b32 s1, s0
	s_cbranch_execz .LBB0_27
; %bb.26:
	v_add_nc_u32_e32 v32, 0x400, v177
	v_add_nc_u32_e32 v33, 0x1400, v177
	ds_load_2addr_b64 v[84:87], v177 offset0:52 offset1:136
	ds_load_2addr_b64 v[92:95], v126 offset0:132 offset1:216
	;; [unrolled: 1-line block ×6, first 2 shown]
	ds_load_b64 v[175:176], v177 offset:8480
.LBB0_27:
	s_wait_alu 0xfffe
	s_or_b32 exec_lo, exec_lo, s1
	s_wait_dscnt 0x5
	v_dual_mul_f32 v126, v13, v103 :: v_dual_mul_f32 v129, v15, v120
	v_dual_mul_f32 v127, v13, v102 :: v_dual_mul_f32 v128, v15, v121
	s_delay_alu instid0(VALU_DEP_2) | instskip(NEXT) | instid1(VALU_DEP_3)
	v_dual_mul_f32 v173, v9, v123 :: v_dual_fmac_f32 v126, v12, v102
	v_fma_f32 v121, v14, v121, -v129
	s_delay_alu instid0(VALU_DEP_3) | instskip(NEXT) | instid1(VALU_DEP_4)
	v_fma_f32 v102, v12, v103, -v127
	v_dual_fmac_f32 v128, v14, v120 :: v_dual_mul_f32 v103, v9, v122
	s_wait_dscnt 0x4
	v_dual_fmac_f32 v173, v8, v122 :: v_dual_mul_f32 v122, v11, v117
	v_dual_mul_f32 v127, v11, v116 :: v_dual_mul_f32 v120, v1, v119
	s_delay_alu instid0(VALU_DEP_3) | instskip(NEXT) | instid1(VALU_DEP_3)
	v_fma_f32 v123, v8, v123, -v103
	v_dual_mul_f32 v103, v1, v118 :: v_dual_fmac_f32 v122, v10, v116
	s_delay_alu instid0(VALU_DEP_3) | instskip(NEXT) | instid1(VALU_DEP_4)
	v_fma_f32 v127, v10, v117, -v127
	v_fmac_f32_e32 v120, v0, v118
	s_wait_dscnt 0x3
	v_mul_f32_e32 v116, v3, v113
	v_fma_f32 v117, v0, v119, -v103
	v_add_f32_e32 v119, v101, v102
	v_dual_mul_f32 v103, v3, v112 :: v_dual_add_f32 v118, v100, v126
	s_wait_dscnt 0x2
	v_dual_mul_f32 v129, v7, v109 :: v_dual_fmac_f32 v116, v2, v112
	v_mul_f32_e32 v112, v5, v115
	s_delay_alu instid0(VALU_DEP_3) | instskip(SKIP_1) | instid1(VALU_DEP_3)
	v_fma_f32 v113, v2, v113, -v103
	v_dual_add_f32 v103, v118, v128 :: v_dual_add_f32 v118, v119, v121
	v_dual_fmac_f32 v129, v6, v108 :: v_dual_fmac_f32 v112, v4, v114
	v_mul_f32_e32 v119, v5, v114
	s_delay_alu instid0(VALU_DEP_3)
	v_dual_add_f32 v103, v103, v173 :: v_dual_add_f32 v118, v118, v123
	global_wb scope:SCOPE_SE
	s_wait_dscnt 0x0
	s_barrier_signal -1
	v_fma_f32 v114, v4, v115, -v119
	v_mul_f32_e32 v115, v7, v108
	v_dual_add_f32 v103, v103, v122 :: v_dual_add_f32 v108, v118, v127
	v_dual_mul_f32 v118, v17, v111 :: v_dual_mul_f32 v119, v23, v125
	s_delay_alu instid0(VALU_DEP_3) | instskip(NEXT) | instid1(VALU_DEP_3)
	v_fma_f32 v109, v6, v109, -v115
	v_add_f32_e32 v103, v103, v120
	s_delay_alu instid0(VALU_DEP_4) | instskip(NEXT) | instid1(VALU_DEP_4)
	v_dual_mul_f32 v115, v17, v110 :: v_dual_add_f32 v108, v108, v117
	v_fmac_f32_e32 v118, v16, v110
	v_dual_mul_f32 v110, v19, v105 :: v_dual_fmac_f32 v119, v22, v124
	s_delay_alu instid0(VALU_DEP_4) | instskip(NEXT) | instid1(VALU_DEP_4)
	v_add_f32_e32 v103, v103, v116
	v_fma_f32 v111, v16, v111, -v115
	v_dual_add_f32 v108, v108, v113 :: v_dual_mul_f32 v115, v19, v104
	s_barrier_wait -1
	s_delay_alu instid0(VALU_DEP_3)
	v_add_f32_e32 v103, v103, v112
	global_inv scope:SCOPE_SE
	v_add_f32_e32 v108, v108, v114
	v_fmac_f32_e32 v110, v18, v104
	v_mul_f32_e32 v104, v21, v107
	v_fma_f32 v105, v18, v105, -v115
	v_mul_f32_e32 v115, v23, v124
	v_add_f32_e32 v103, v103, v129
	v_add_f32_e32 v108, v108, v109
	s_delay_alu instid0(VALU_DEP_3) | instskip(NEXT) | instid1(VALU_DEP_2)
	v_fma_f32 v115, v22, v125, -v115
	v_dual_add_f32 v103, v103, v118 :: v_dual_add_f32 v108, v108, v111
	s_delay_alu instid0(VALU_DEP_1) | instskip(SKIP_3) | instid1(VALU_DEP_1)
	v_dual_add_f32 v174, v102, v115 :: v_dual_add_f32 v103, v103, v110
	v_sub_f32_e32 v124, v102, v115
	v_fmac_f32_e32 v104, v20, v106
	v_mul_f32_e32 v106, v21, v106
	v_fma_f32 v106, v20, v107, -v106
	v_add_f32_e32 v107, v108, v105
	v_dual_mul_f32 v125, 0xbeedf032, v124 :: v_dual_add_f32 v108, v126, v119
	v_add_f32_e32 v102, v103, v104
	s_delay_alu instid0(VALU_DEP_3) | instskip(NEXT) | instid1(VALU_DEP_3)
	v_add_f32_e32 v103, v107, v106
	v_dual_sub_f32 v107, v126, v119 :: v_dual_fmamk_f32 v126, v108, 0x3f62ad3f, v125
	v_fma_f32 v125, 0x3f62ad3f, v108, -v125
	s_delay_alu instid0(VALU_DEP_3) | instskip(NEXT) | instid1(VALU_DEP_3)
	v_add_f32_e32 v103, v103, v115
	v_dual_add_f32 v115, v100, v126 :: v_dual_mul_f32 v126, 0xbf52af12, v124
	s_delay_alu instid0(VALU_DEP_3) | instskip(SKIP_2) | instid1(VALU_DEP_4)
	v_dual_add_f32 v125, v100, v125 :: v_dual_mul_f32 v182, 0x3f116cb1, v174
	v_mul_f32_e32 v180, 0x3f62ad3f, v174
	v_mul_f32_e32 v191, 0xbeb58ec6, v174
	v_fmamk_f32 v183, v108, 0x3f116cb1, v126
	v_fma_f32 v126, 0x3f116cb1, v108, -v126
	v_mul_f32_e32 v185, 0xbf7e222b, v124
	v_mul_f32_e32 v194, 0xbf3f9e67, v174
	v_dual_mul_f32 v193, 0xbf29c268, v124 :: v_dual_add_f32 v102, v102, v119
	s_delay_alu instid0(VALU_DEP_4) | instskip(NEXT) | instid1(VALU_DEP_4)
	v_dual_fmamk_f32 v119, v107, 0x3eedf032, v180 :: v_dual_add_f32 v126, v100, v126
	v_fmamk_f32 v186, v108, 0x3df6dbef, v185
	v_fma_f32 v185, 0x3df6dbef, v108, -v185
	v_fmamk_f32 v184, v107, 0x3f52af12, v182
	v_mul_f32_e32 v187, 0x3df6dbef, v174
	v_fmamk_f32 v196, v107, 0x3f29c268, v194
	s_delay_alu instid0(VALU_DEP_4) | instskip(NEXT) | instid1(VALU_DEP_4)
	v_dual_fmac_f32 v194, 0xbf29c268, v107 :: v_dual_add_f32 v185, v100, v185
	v_dual_add_f32 v184, v101, v184 :: v_dual_fmamk_f32 v195, v108, 0xbf3f9e67, v193
	v_fmamk_f32 v192, v107, 0x3f6f5d39, v191
	v_fma_f32 v193, 0xbf3f9e67, v108, -v193
	v_fmac_f32_e32 v182, 0xbf52af12, v107
	v_add_f32_e32 v119, v101, v119
	v_fmamk_f32 v189, v107, 0x3f7e222b, v187
	v_fmac_f32_e32 v180, 0xbeedf032, v107
	v_dual_add_f32 v195, v100, v195 :: v_dual_add_f32 v192, v101, v192
	v_dual_mul_f32 v188, 0xbf6f5d39, v124 :: v_dual_fmac_f32 v191, 0xbf6f5d39, v107
	v_dual_mul_f32 v174, 0xbf788fa5, v174 :: v_dual_add_f32 v193, v100, v193
	v_dual_add_f32 v182, v101, v182 :: v_dual_add_f32 v183, v100, v183
	v_add_f32_e32 v189, v101, v189
	v_add_f32_e32 v180, v101, v180
	s_delay_alu instid0(VALU_DEP_4) | instskip(SKIP_3) | instid1(VALU_DEP_4)
	v_dual_sub_f32 v198, v121, v106 :: v_dual_fmamk_f32 v201, v107, 0x3e750f2a, v174
	v_fmac_f32_e32 v174, 0xbe750f2a, v107
	v_fmamk_f32 v190, v108, 0xbeb58ec6, v188
	v_fma_f32 v188, 0xbeb58ec6, v108, -v188
	v_dual_add_f32 v202, v128, v104 :: v_dual_mul_f32 v203, 0xbf52af12, v198
	s_delay_alu instid0(VALU_DEP_3) | instskip(NEXT) | instid1(VALU_DEP_3)
	v_dual_fmac_f32 v187, 0xbf7e222b, v107 :: v_dual_add_f32 v190, v100, v190
	v_add_f32_e32 v188, v100, v188
	s_delay_alu instid0(VALU_DEP_3) | instskip(SKIP_3) | instid1(VALU_DEP_4)
	v_dual_add_f32 v106, v121, v106 :: v_dual_fmamk_f32 v107, v202, 0x3f116cb1, v203
	v_mul_f32_e32 v124, 0xbe750f2a, v124
	v_add_f32_e32 v194, v101, v194
	v_add_f32_e32 v187, v101, v187
	v_mul_f32_e32 v121, 0x3f116cb1, v106
	v_add_f32_e32 v107, v107, v115
	v_fmamk_f32 v197, v108, 0xbf788fa5, v124
	v_fma_f32 v108, 0xbf788fa5, v108, -v124
	v_dual_mul_f32 v115, 0xbf6f5d39, v198 :: v_dual_sub_f32 v104, v128, v104
	v_dual_add_f32 v186, v100, v186 :: v_dual_add_f32 v191, v101, v191
	s_delay_alu instid0(VALU_DEP_4) | instskip(NEXT) | instid1(VALU_DEP_4)
	v_dual_add_f32 v197, v100, v197 :: v_dual_add_f32 v196, v101, v196
	v_add_f32_e32 v100, v100, v108
	s_delay_alu instid0(VALU_DEP_4) | instskip(SKIP_1) | instid1(VALU_DEP_2)
	v_fmamk_f32 v108, v104, 0x3f52af12, v121
	v_fma_f32 v128, 0x3f116cb1, v202, -v203
	v_dual_add_f32 v108, v108, v119 :: v_dual_fmamk_f32 v119, v202, 0xbeb58ec6, v115
	v_dual_add_f32 v124, v101, v201 :: v_dual_fmac_f32 v121, 0xbf52af12, v104
	s_delay_alu instid0(VALU_DEP_3) | instskip(SKIP_1) | instid1(VALU_DEP_4)
	v_add_f32_e32 v125, v128, v125
	v_fma_f32 v115, 0xbeb58ec6, v202, -v115
	v_add_f32_e32 v119, v119, v183
	v_mul_f32_e32 v201, 0xbf3f9e67, v106
	v_add_f32_e32 v121, v121, v180
	v_add_f32_e32 v101, v101, v174
	v_mul_f32_e32 v174, 0xbeb58ec6, v106
	v_mul_f32_e32 v180, 0xbe750f2a, v198
	s_delay_alu instid0(VALU_DEP_2) | instskip(SKIP_1) | instid1(VALU_DEP_3)
	v_dual_add_f32 v115, v115, v126 :: v_dual_fmamk_f32 v128, v104, 0x3f6f5d39, v174
	v_fmac_f32_e32 v174, 0xbf6f5d39, v104
	v_fmamk_f32 v183, v202, 0xbf788fa5, v180
	v_fma_f32 v180, 0xbf788fa5, v202, -v180
	s_delay_alu instid0(VALU_DEP_3) | instskip(SKIP_1) | instid1(VALU_DEP_4)
	v_add_f32_e32 v126, v174, v182
	v_mul_f32_e32 v174, 0x3f29c268, v198
	v_add_f32_e32 v182, v183, v186
	s_delay_alu instid0(VALU_DEP_4) | instskip(NEXT) | instid1(VALU_DEP_3)
	v_add_f32_e32 v180, v180, v185
	v_fmamk_f32 v186, v202, 0xbf3f9e67, v174
	s_delay_alu instid0(VALU_DEP_1) | instskip(SKIP_4) | instid1(VALU_DEP_3)
	v_dual_add_f32 v185, v186, v190 :: v_dual_add_f32 v128, v128, v184
	v_mul_f32_e32 v184, 0xbf788fa5, v106
	v_fmamk_f32 v186, v104, 0xbf29c268, v201
	v_fmac_f32_e32 v201, 0x3f29c268, v104
	v_fma_f32 v174, 0xbf3f9e67, v202, -v174
	v_dual_fmamk_f32 v183, v104, 0x3e750f2a, v184 :: v_dual_add_f32 v186, v186, v192
	s_delay_alu instid0(VALU_DEP_3) | instskip(NEXT) | instid1(VALU_DEP_2)
	v_dual_mul_f32 v192, 0x3eedf032, v198 :: v_dual_add_f32 v191, v201, v191
	v_add_f32_e32 v183, v183, v189
	v_mul_f32_e32 v189, 0x3df6dbef, v106
	v_mul_f32_e32 v106, 0x3f62ad3f, v106
	v_add_f32_e32 v174, v174, v188
	s_delay_alu instid0(VALU_DEP_3) | instskip(SKIP_1) | instid1(VALU_DEP_1)
	v_fmamk_f32 v188, v104, 0xbf7e222b, v189
	v_fmac_f32_e32 v189, 0x3f7e222b, v104
	v_dual_fmac_f32 v184, 0xbe750f2a, v104 :: v_dual_add_f32 v189, v189, v194
	s_delay_alu instid0(VALU_DEP_1) | instskip(NEXT) | instid1(VALU_DEP_1)
	v_dual_add_f32 v184, v184, v187 :: v_dual_mul_f32 v187, 0x3f7e222b, v198
	v_fmamk_f32 v190, v202, 0x3df6dbef, v187
	v_fma_f32 v187, 0x3df6dbef, v202, -v187
	s_delay_alu instid0(VALU_DEP_2) | instskip(SKIP_1) | instid1(VALU_DEP_3)
	v_add_f32_e32 v190, v190, v195
	v_fmamk_f32 v195, v202, 0x3f62ad3f, v192
	v_add_f32_e32 v187, v187, v193
	v_sub_f32_e32 v193, v123, v105
	v_add_f32_e32 v105, v123, v105
	s_delay_alu instid0(VALU_DEP_4) | instskip(NEXT) | instid1(VALU_DEP_3)
	v_dual_add_f32 v194, v195, v197 :: v_dual_fmamk_f32 v195, v104, 0xbeedf032, v106
	v_dual_mul_f32 v197, 0xbf7e222b, v193 :: v_dual_add_f32 v188, v188, v196
	v_fmac_f32_e32 v106, 0x3eedf032, v104
	v_sub_f32_e32 v104, v173, v110
	v_dual_add_f32 v196, v173, v110 :: v_dual_mul_f32 v173, 0x3df6dbef, v105
	s_delay_alu instid0(VALU_DEP_1) | instskip(NEXT) | instid1(VALU_DEP_1)
	v_dual_add_f32 v101, v106, v101 :: v_dual_fmamk_f32 v110, v196, 0x3df6dbef, v197
	v_dual_add_f32 v106, v110, v107 :: v_dual_fmamk_f32 v107, v104, 0x3f7e222b, v173
	v_mul_f32_e32 v110, 0xbe750f2a, v193
	v_fmac_f32_e32 v173, 0xbf7e222b, v104
	s_delay_alu instid0(VALU_DEP_3) | instskip(SKIP_2) | instid1(VALU_DEP_4)
	v_add_f32_e32 v107, v107, v108
	v_fma_f32 v123, 0x3f62ad3f, v202, -v192
	v_mul_f32_e32 v192, 0xbf788fa5, v105
	v_add_f32_e32 v121, v173, v121
	v_dual_mul_f32 v173, 0x3f6f5d39, v193 :: v_dual_add_f32 v124, v195, v124
	s_delay_alu instid0(VALU_DEP_4) | instskip(SKIP_2) | instid1(VALU_DEP_2)
	v_add_f32_e32 v100, v123, v100
	v_fma_f32 v123, 0x3df6dbef, v196, -v197
	v_mul_f32_e32 v195, 0x3f62ad3f, v105
	v_add_f32_e32 v123, v123, v125
	v_fmamk_f32 v125, v104, 0x3e750f2a, v192
	v_fmamk_f32 v108, v196, 0xbf788fa5, v110
	s_delay_alu instid0(VALU_DEP_1) | instskip(SKIP_2) | instid1(VALU_DEP_2)
	v_dual_add_f32 v108, v108, v119 :: v_dual_add_f32 v119, v125, v128
	v_dual_fmamk_f32 v125, v196, 0xbeb58ec6, v173 :: v_dual_mul_f32 v128, 0xbeb58ec6, v105
	v_fma_f32 v173, 0xbeb58ec6, v196, -v173
	v_dual_add_f32 v125, v125, v182 :: v_dual_fmamk_f32 v182, v104, 0xbf6f5d39, v128
	v_fmac_f32_e32 v128, 0x3f6f5d39, v104
	s_delay_alu instid0(VALU_DEP_3) | instskip(SKIP_1) | instid1(VALU_DEP_4)
	v_add_f32_e32 v173, v173, v180
	v_fma_f32 v110, 0xbf788fa5, v196, -v110
	v_add_f32_e32 v182, v182, v183
	s_delay_alu instid0(VALU_DEP_4) | instskip(NEXT) | instid1(VALU_DEP_3)
	v_add_f32_e32 v128, v128, v184
	v_dual_fmamk_f32 v183, v104, 0xbeedf032, v195 :: v_dual_add_f32 v110, v110, v115
	v_mul_f32_e32 v184, 0xbf52af12, v193
	v_fmac_f32_e32 v195, 0x3eedf032, v104
	s_delay_alu instid0(VALU_DEP_3) | instskip(NEXT) | instid1(VALU_DEP_3)
	v_dual_add_f32 v183, v183, v186 :: v_dual_fmac_f32 v192, 0xbe750f2a, v104
	v_fmamk_f32 v186, v196, 0x3f116cb1, v184
	v_fma_f32 v184, 0x3f116cb1, v196, -v184
	s_delay_alu instid0(VALU_DEP_4) | instskip(NEXT) | instid1(VALU_DEP_2)
	v_add_f32_e32 v191, v195, v191
	v_add_f32_e32 v184, v184, v187
	v_sub_f32_e32 v187, v127, v111
	v_dual_add_f32 v115, v192, v126 :: v_dual_mul_f32 v126, 0x3eedf032, v193
	v_dual_add_f32 v111, v127, v111 :: v_dual_add_f32 v186, v186, v190
	v_add_f32_e32 v190, v122, v118
	s_delay_alu instid0(VALU_DEP_3) | instskip(SKIP_1) | instid1(VALU_DEP_2)
	v_fmamk_f32 v192, v196, 0x3f62ad3f, v126
	v_fma_f32 v126, 0x3f62ad3f, v196, -v126
	v_add_f32_e32 v180, v192, v185
	v_mul_f32_e32 v185, 0x3f116cb1, v105
	s_delay_alu instid0(VALU_DEP_3) | instskip(SKIP_2) | instid1(VALU_DEP_4)
	v_dual_mul_f32 v105, 0xbf3f9e67, v105 :: v_dual_add_f32 v126, v126, v174
	v_mul_f32_e32 v192, 0xbf29c268, v193
	v_mul_f32_e32 v193, 0xbf6f5d39, v187
	v_fmamk_f32 v174, v104, 0x3f52af12, v185
	v_fmac_f32_e32 v185, 0xbf52af12, v104
	s_delay_alu instid0(VALU_DEP_1)
	v_add_f32_e32 v185, v185, v189
	v_fmamk_f32 v189, v104, 0x3f29c268, v105
	v_dual_fmac_f32 v105, 0xbf29c268, v104 :: v_dual_sub_f32 v104, v122, v118
	v_fmamk_f32 v118, v190, 0xbeb58ec6, v193
	v_mul_f32_e32 v122, 0xbeb58ec6, v111
	v_fma_f32 v127, 0xbf3f9e67, v196, -v192
	s_delay_alu instid0(VALU_DEP_4) | instskip(NEXT) | instid1(VALU_DEP_3)
	v_add_f32_e32 v101, v105, v101
	v_dual_add_f32 v105, v118, v106 :: v_dual_fmamk_f32 v106, v104, 0x3f6f5d39, v122
	v_mul_f32_e32 v118, 0x3f29c268, v187
	s_delay_alu instid0(VALU_DEP_4) | instskip(SKIP_4) | instid1(VALU_DEP_4)
	v_add_f32_e32 v100, v127, v100
	v_fma_f32 v127, 0xbeb58ec6, v190, -v193
	v_fmac_f32_e32 v122, 0xbf6f5d39, v104
	v_add_f32_e32 v106, v106, v107
	v_fmamk_f32 v107, v190, 0xbf3f9e67, v118
	v_add_f32_e32 v123, v127, v123
	v_dual_mul_f32 v127, 0x3eedf032, v187 :: v_dual_add_f32 v124, v189, v124
	v_mul_f32_e32 v189, 0xbf3f9e67, v111
	s_delay_alu instid0(VALU_DEP_4) | instskip(SKIP_4) | instid1(VALU_DEP_2)
	v_add_f32_e32 v107, v107, v108
	v_add_f32_e32 v174, v174, v188
	;; [unrolled: 1-line block ×3, first 2 shown]
	v_fma_f32 v108, 0xbf3f9e67, v190, -v118
	v_fmamk_f32 v122, v104, 0xbf29c268, v189
	v_dual_fmac_f32 v189, 0x3f29c268, v104 :: v_dual_add_f32 v108, v108, v110
	s_delay_alu instid0(VALU_DEP_2)
	v_add_f32_e32 v118, v122, v119
	v_fmamk_f32 v119, v190, 0x3f62ad3f, v127
	v_fmamk_f32 v188, v196, 0xbf3f9e67, v192
	v_mul_f32_e32 v122, 0x3f62ad3f, v111
	v_add_f32_e32 v110, v189, v115
	v_mul_f32_e32 v115, 0xbf7e222b, v187
	s_delay_alu instid0(VALU_DEP_4) | instskip(SKIP_1) | instid1(VALU_DEP_3)
	v_dual_add_f32 v119, v119, v125 :: v_dual_add_f32 v188, v188, v194
	v_fma_f32 v127, 0x3f62ad3f, v190, -v127
	v_dual_mul_f32 v192, 0x3df6dbef, v111 :: v_dual_fmamk_f32 v189, v190, 0x3df6dbef, v115
	v_fma_f32 v115, 0x3df6dbef, v190, -v115
	s_delay_alu instid0(VALU_DEP_3) | instskip(SKIP_1) | instid1(VALU_DEP_4)
	v_add_f32_e32 v127, v127, v173
	v_fmamk_f32 v125, v104, 0xbeedf032, v122
	v_fmamk_f32 v173, v104, 0x3f7e222b, v192
	s_delay_alu instid0(VALU_DEP_4) | instskip(NEXT) | instid1(VALU_DEP_3)
	v_add_f32_e32 v115, v115, v126
	v_dual_add_f32 v125, v125, v182 :: v_dual_mul_f32 v182, 0xbf788fa5, v111
	v_mul_f32_e32 v111, 0x3f116cb1, v111
	s_delay_alu instid0(VALU_DEP_2) | instskip(SKIP_1) | instid1(VALU_DEP_1)
	v_dual_add_f32 v173, v173, v183 :: v_dual_fmamk_f32 v126, v104, 0xbe750f2a, v182
	v_fmac_f32_e32 v182, 0x3e750f2a, v104
	v_dual_add_f32 v182, v182, v185 :: v_dual_fmamk_f32 v185, v104, 0xbf52af12, v111
	v_fmac_f32_e32 v111, 0x3f52af12, v104
	s_delay_alu instid0(VALU_DEP_1) | instskip(NEXT) | instid1(VALU_DEP_1)
	v_dual_add_f32 v101, v111, v101 :: v_dual_fmac_f32 v122, 0x3eedf032, v104
	v_add_f32_e32 v122, v122, v128
	v_add_f32_e32 v128, v189, v180
	v_mul_f32_e32 v180, 0x3e750f2a, v187
	v_mul_f32_e32 v187, 0x3f52af12, v187
	s_delay_alu instid0(VALU_DEP_2) | instskip(SKIP_1) | instid1(VALU_DEP_1)
	v_fmamk_f32 v183, v190, 0xbf788fa5, v180
	v_fma_f32 v180, 0xbf788fa5, v190, -v180
	v_dual_add_f32 v183, v183, v186 :: v_dual_add_f32 v180, v180, v184
	v_sub_f32_e32 v184, v117, v109
	v_add_f32_e32 v109, v117, v109
	v_add_f32_e32 v186, v120, v129
	v_fma_f32 v117, 0x3f116cb1, v190, -v187
	s_delay_alu instid0(VALU_DEP_3) | instskip(SKIP_2) | instid1(VALU_DEP_4)
	v_dual_add_f32 v124, v185, v124 :: v_dual_mul_f32 v185, 0x3df6dbef, v109
	v_fmac_f32_e32 v192, 0xbf7e222b, v104
	v_sub_f32_e32 v104, v120, v129
	v_dual_mul_f32 v129, 0xbf3f9e67, v109 :: v_dual_add_f32 v100, v117, v100
	s_delay_alu instid0(VALU_DEP_1) | instskip(NEXT) | instid1(VALU_DEP_1)
	v_fmamk_f32 v111, v104, 0x3f29c268, v129
	v_dual_mul_f32 v117, 0x3f7e222b, v184 :: v_dual_add_f32 v106, v111, v106
	s_delay_alu instid0(VALU_DEP_1) | instskip(SKIP_1) | instid1(VALU_DEP_2)
	v_fmamk_f32 v111, v186, 0x3df6dbef, v117
	v_fmac_f32_e32 v129, 0xbf29c268, v104
	v_dual_add_f32 v107, v111, v107 :: v_dual_add_f32 v126, v126, v174
	s_delay_alu instid0(VALU_DEP_2) | instskip(SKIP_2) | instid1(VALU_DEP_3)
	v_dual_fmamk_f32 v174, v190, 0x3f116cb1, v187 :: v_dual_add_f32 v121, v129, v121
	v_mul_f32_e32 v129, 0xbf52af12, v184
	v_fma_f32 v111, 0x3df6dbef, v186, -v117
	v_dual_mul_f32 v187, 0xbf788fa5, v109 :: v_dual_add_f32 v174, v174, v188
	v_mul_f32_e32 v188, 0xbf29c268, v184
	s_delay_alu instid0(VALU_DEP_3) | instskip(SKIP_1) | instid1(VALU_DEP_3)
	v_add_f32_e32 v108, v111, v108
	v_mul_f32_e32 v111, 0x3e750f2a, v184
	v_fmamk_f32 v120, v186, 0xbf3f9e67, v188
	s_delay_alu instid0(VALU_DEP_1) | instskip(SKIP_1) | instid1(VALU_DEP_1)
	v_add_f32_e32 v105, v120, v105
	v_fma_f32 v120, 0xbf3f9e67, v186, -v188
	v_add_f32_e32 v120, v120, v123
	v_fmamk_f32 v123, v104, 0xbf7e222b, v185
	v_fmac_f32_e32 v185, 0x3f7e222b, v104
	v_add_f32_e32 v189, v192, v191
	s_delay_alu instid0(VALU_DEP_3) | instskip(NEXT) | instid1(VALU_DEP_3)
	v_dual_add_f32 v117, v123, v118 :: v_dual_fmamk_f32 v118, v186, 0x3f116cb1, v129
	v_dual_mul_f32 v123, 0x3f116cb1, v109 :: v_dual_add_f32 v110, v185, v110
	v_fma_f32 v129, 0x3f116cb1, v186, -v129
	v_fmamk_f32 v185, v186, 0xbf788fa5, v111
	s_delay_alu instid0(VALU_DEP_3) | instskip(SKIP_2) | instid1(VALU_DEP_3)
	v_dual_add_f32 v118, v118, v119 :: v_dual_fmamk_f32 v119, v104, 0x3f52af12, v123
	v_fmac_f32_e32 v123, 0xbf52af12, v104
	v_fma_f32 v111, 0xbf788fa5, v186, -v111
	v_add_f32_e32 v119, v119, v125
	s_delay_alu instid0(VALU_DEP_3) | instskip(SKIP_4) | instid1(VALU_DEP_4)
	v_dual_add_f32 v125, v129, v127 :: v_dual_add_f32 v122, v123, v122
	v_mul_f32_e32 v129, 0x3f62ad3f, v109
	v_add_f32_e32 v123, v185, v128
	v_fmamk_f32 v127, v104, 0xbe750f2a, v187
	v_dual_mul_f32 v128, 0x3eedf032, v184 :: v_dual_add_f32 v185, v111, v115
	v_fmamk_f32 v111, v104, 0xbeedf032, v129
	v_mul_f32_e32 v115, 0xbf6f5d39, v184
	s_delay_alu instid0(VALU_DEP_4) | instskip(NEXT) | instid1(VALU_DEP_4)
	v_add_f32_e32 v127, v127, v173
	v_fmamk_f32 v173, v186, 0x3f62ad3f, v128
	v_fma_f32 v128, 0x3f62ad3f, v186, -v128
	v_dual_fmac_f32 v129, 0x3eedf032, v104 :: v_dual_add_f32 v184, v113, v114
	s_delay_alu instid0(VALU_DEP_2) | instskip(SKIP_3) | instid1(VALU_DEP_3)
	v_dual_mul_f32 v109, 0xbeb58ec6, v109 :: v_dual_add_f32 v128, v128, v180
	v_dual_sub_f32 v180, v113, v114 :: v_dual_fmac_f32 v187, 0x3e750f2a, v104
	v_dual_add_f32 v126, v111, v126 :: v_dual_fmamk_f32 v111, v186, 0xbeb58ec6, v115
	v_add_f32_e32 v173, v173, v183
	v_mul_f32_e32 v183, 0xbe750f2a, v180
	s_delay_alu instid0(VALU_DEP_4)
	v_add_f32_e32 v187, v187, v189
	v_add_f32_e32 v129, v129, v182
	v_dual_add_f32 v174, v111, v174 :: v_dual_fmamk_f32 v111, v104, 0x3f6f5d39, v109
	v_add_f32_e32 v182, v116, v112
	v_fma_f32 v113, 0xbeb58ec6, v186, -v115
	v_sub_f32_e32 v186, v116, v112
	v_mul_f32_e32 v114, 0xbf3f9e67, v184
	v_add_f32_e32 v124, v111, v124
	v_fmac_f32_e32 v109, 0xbf6f5d39, v104
	v_fmamk_f32 v104, v182, 0xbf788fa5, v183
	v_mul_f32_e32 v112, 0xbf788fa5, v184
	v_add_f32_e32 v188, v113, v100
	v_mul_f32_e32 v113, 0xbf29c268, v180
	v_add_f32_e32 v189, v109, v101
	v_dual_add_f32 v100, v104, v105 :: v_dual_mul_f32 v109, 0x3eedf032, v180
	v_fma_f32 v104, 0xbf788fa5, v182, -v183
	v_fmamk_f32 v101, v186, 0x3e750f2a, v112
	v_fmac_f32_e32 v112, 0xbe750f2a, v186
	v_mul_f32_e32 v111, 0x3f62ad3f, v184
	v_mul_f32_e32 v115, 0x3f52af12, v180
	s_delay_alu instid0(VALU_DEP_4) | instskip(NEXT) | instid1(VALU_DEP_4)
	v_dual_add_f32 v104, v104, v120 :: v_dual_add_f32 v101, v101, v106
	v_dual_fmamk_f32 v106, v182, 0x3f62ad3f, v109 :: v_dual_add_f32 v105, v112, v121
	s_delay_alu instid0(VALU_DEP_4) | instskip(SKIP_1) | instid1(VALU_DEP_3)
	v_fmamk_f32 v112, v186, 0xbeedf032, v111
	v_fma_f32 v109, 0x3f62ad3f, v182, -v109
	v_dual_fmac_f32 v111, 0x3eedf032, v186 :: v_dual_add_f32 v106, v106, v107
	s_delay_alu instid0(VALU_DEP_3) | instskip(NEXT) | instid1(VALU_DEP_2)
	v_dual_fmamk_f32 v116, v182, 0x3f116cb1, v115 :: v_dual_add_f32 v107, v112, v117
	v_dual_add_f32 v108, v109, v108 :: v_dual_add_f32 v109, v111, v110
	v_fmamk_f32 v111, v186, 0x3f29c268, v114
	v_fmac_f32_e32 v114, 0xbf29c268, v186
	s_delay_alu instid0(VALU_DEP_2) | instskip(NEXT) | instid1(VALU_DEP_1)
	v_dual_fmamk_f32 v112, v182, 0xbf3f9e67, v113 :: v_dual_add_f32 v111, v111, v119
	v_add_f32_e32 v110, v112, v118
	v_fma_f32 v112, 0xbf3f9e67, v182, -v113
	s_delay_alu instid0(VALU_DEP_4) | instskip(SKIP_3) | instid1(VALU_DEP_4)
	v_dual_add_f32 v113, v114, v122 :: v_dual_mul_f32 v118, 0xbf6f5d39, v180
	v_dual_mul_f32 v121, 0xbeb58ec6, v184 :: v_dual_add_f32 v114, v116, v123
	v_mul_f32_e32 v123, 0x3f7e222b, v180
	v_fma_f32 v119, 0x3f116cb1, v182, -v115
	v_fmamk_f32 v120, v182, 0xbeb58ec6, v118
	v_mul_f32_e32 v117, 0x3f116cb1, v184
	v_fma_f32 v122, 0xbeb58ec6, v182, -v118
	v_dual_add_f32 v112, v112, v125 :: v_dual_mul_f32 v125, 0x3df6dbef, v184
	s_delay_alu instid0(VALU_DEP_4) | instskip(NEXT) | instid1(VALU_DEP_4)
	v_add_f32_e32 v118, v120, v173
	v_fmamk_f32 v116, v186, 0xbf52af12, v117
	s_delay_alu instid0(VALU_DEP_4) | instskip(NEXT) | instid1(VALU_DEP_1)
	v_dual_fmac_f32 v117, 0x3f52af12, v186 :: v_dual_add_f32 v120, v122, v128
	v_dual_fmamk_f32 v122, v182, 0x3df6dbef, v123 :: v_dual_add_f32 v117, v117, v187
	s_delay_alu instid0(VALU_DEP_3) | instskip(NEXT) | instid1(VALU_DEP_2)
	v_dual_add_f32 v115, v116, v127 :: v_dual_add_f32 v116, v119, v185
	v_add_f32_e32 v122, v122, v174
	v_fma_f32 v127, 0x3df6dbef, v182, -v123
	v_fmamk_f32 v119, v186, 0x3f6f5d39, v121
	v_fmac_f32_e32 v121, 0xbf6f5d39, v186
	s_delay_alu instid0(VALU_DEP_2) | instskip(SKIP_1) | instid1(VALU_DEP_3)
	v_dual_add_f32 v119, v119, v126 :: v_dual_fmamk_f32 v126, v186, 0xbf7e222b, v125
	v_fmac_f32_e32 v125, 0x3f7e222b, v186
	v_add_f32_e32 v121, v121, v129
	s_delay_alu instid0(VALU_DEP_3) | instskip(NEXT) | instid1(VALU_DEP_3)
	v_add_f32_e32 v123, v126, v124
	v_dual_add_f32 v124, v127, v188 :: v_dual_add_f32 v125, v125, v189
	ds_store_2addr_b64 v199, v[102:103], v[100:101] offset1:4
	ds_store_2addr_b64 v199, v[106:107], v[110:111] offset0:8 offset1:12
	ds_store_2addr_b64 v199, v[114:115], v[118:119] offset0:16 offset1:20
	;; [unrolled: 1-line block ×5, first 2 shown]
	ds_store_b64 v199, v[104:105] offset:384
	s_and_saveexec_b32 s1, s0
	s_cbranch_execz .LBB0_29
; %bb.28:
	v_dual_mul_f32 v101, v13, v87 :: v_dual_mul_f32 v100, v23, v176
	v_dual_mul_f32 v102, v23, v175 :: v_dual_mul_f32 v13, v13, v86
	s_delay_alu instid0(VALU_DEP_2) | instskip(NEXT) | instid1(VALU_DEP_3)
	v_dual_mul_f32 v108, v3, v89 :: v_dual_fmac_f32 v101, v12, v86
	v_fmac_f32_e32 v100, v22, v175
	v_dual_mul_f32 v86, v15, v97 :: v_dual_mul_f32 v23, v21, v39
	s_delay_alu instid0(VALU_DEP_4) | instskip(SKIP_1) | instid1(VALU_DEP_4)
	v_fma_f32 v22, v22, v176, -v102
	v_fma_f32 v87, v12, v87, -v13
	v_sub_f32_e32 v13, v101, v100
	v_mul_f32_e32 v102, v21, v38
	v_dual_fmac_f32 v86, v14, v96 :: v_dual_fmac_f32 v23, v20, v38
	s_delay_alu instid0(VALU_DEP_3) | instskip(SKIP_1) | instid1(VALU_DEP_3)
	v_dual_add_f32 v38, v22, v87 :: v_dual_mul_f32 v103, 0xbe750f2a, v13
	v_dual_mul_f32 v15, v15, v96 :: v_dual_mul_f32 v96, v9, v99
	v_dual_mul_f32 v21, v19, v37 :: v_dual_sub_f32 v12, v86, v23
	s_delay_alu instid0(VALU_DEP_3) | instskip(SKIP_1) | instid1(VALU_DEP_4)
	v_fmamk_f32 v104, v38, 0xbf788fa5, v103
	v_fma_f32 v20, v20, v39, -v102
	v_fma_f32 v39, v14, v97, -v15
	v_mul_f32_e32 v15, v9, v98
	v_dual_fmac_f32 v96, v8, v98 :: v_dual_fmac_f32 v21, v18, v36
	v_mul_f32_e32 v14, v19, v36
	s_delay_alu instid0(VALU_DEP_4) | instskip(NEXT) | instid1(VALU_DEP_4)
	v_dual_mul_f32 v19, 0x3eedf032, v12 :: v_dual_add_f32 v36, v20, v39
	v_fma_f32 v97, v8, v99, -v15
	s_delay_alu instid0(VALU_DEP_4) | instskip(NEXT) | instid1(VALU_DEP_4)
	v_sub_f32_e32 v9, v96, v21
	v_fma_f32 v18, v18, v37, -v14
	v_add_f32_e32 v8, v85, v104
	v_dual_fmamk_f32 v14, v36, 0x3f62ad3f, v19 :: v_dual_mul_f32 v99, v11, v93
	s_delay_alu instid0(VALU_DEP_4) | instskip(NEXT) | instid1(VALU_DEP_4)
	v_mul_f32_e32 v37, 0xbf29c268, v9
	v_add_f32_e32 v98, v18, v97
	v_mul_f32_e32 v102, v17, v35
	s_delay_alu instid0(VALU_DEP_4) | instskip(SKIP_1) | instid1(VALU_DEP_4)
	v_dual_add_f32 v14, v14, v8 :: v_dual_mul_f32 v17, v17, v34
	v_mul_f32_e32 v11, v11, v92
	v_fmamk_f32 v15, v98, 0xbf3f9e67, v37
	s_delay_alu instid0(VALU_DEP_4)
	v_dual_fmac_f32 v99, v10, v92 :: v_dual_fmac_f32 v102, v16, v34
	v_mul_f32_e32 v92, v1, v95
	v_mul_f32_e32 v1, v1, v94
	v_fma_f32 v93, v10, v93, -v11
	v_fma_f32 v105, v16, v35, -v17
	v_sub_f32_e32 v110, v87, v22
	v_fmac_f32_e32 v92, v0, v94
	v_fma_f32 v95, v0, v95, -v1
	v_mul_f32_e32 v10, v7, v32
	v_sub_f32_e32 v111, v39, v20
	v_dual_add_f32 v0, v15, v14 :: v_dual_mul_f32 v109, v5, v91
	v_dual_mul_f32 v34, 0xbe750f2a, v110 :: v_dual_mul_f32 v3, v3, v88
	s_delay_alu instid0(VALU_DEP_4) | instskip(SKIP_1) | instid1(VALU_DEP_4)
	v_fma_f32 v106, v6, v33, -v10
	v_add_f32_e32 v10, v100, v101
	v_fmac_f32_e32 v109, v4, v90
	v_mul_f32_e32 v35, 0x3eedf032, v111
	v_fma_f32 v89, v2, v89, -v3
	v_dual_add_f32 v107, v106, v95 :: v_dual_add_f32 v94, v105, v93
	v_mul_f32_e32 v104, v7, v33
	v_fma_f32 v103, 0xbf788fa5, v38, -v103
	v_fma_f32 v37, 0xbf3f9e67, v98, -v37
	v_mul_f32_e32 v118, 0x3f116cb1, v98
	v_mul_f32_e32 v120, 0x3f7e222b, v111
	v_fmac_f32_e32 v104, v6, v32
	v_sub_f32_e32 v8, v99, v102
	v_dual_add_f32 v11, v23, v86 :: v_dual_mul_f32 v190, 0xbe750f2a, v111
	v_mul_f32_e32 v185, 0xbf788fa5, v36
	s_delay_alu instid0(VALU_DEP_4) | instskip(NEXT) | instid1(VALU_DEP_4)
	v_sub_f32_e32 v7, v92, v104
	v_mul_f32_e32 v32, 0x3f52af12, v8
	s_delay_alu instid0(VALU_DEP_4) | instskip(SKIP_1) | instid1(VALU_DEP_4)
	v_dual_mul_f32 v175, 0xbf788fa5, v107 :: v_dual_fmamk_f32 v192, v11, 0xbf788fa5, v190
	v_mul_f32_e32 v174, 0x3f29c268, v111
	v_mul_f32_e32 v33, 0xbf6f5d39, v7
	s_delay_alu instid0(VALU_DEP_4) | instskip(SKIP_2) | instid1(VALU_DEP_3)
	v_fmamk_f32 v1, v94, 0x3f116cb1, v32
	v_dual_add_f32 v15, v102, v99 :: v_dual_mul_f32 v126, 0xbf3f9e67, v36
	v_dual_mul_f32 v206, 0x3df6dbef, v107 :: v_dual_add_f32 v87, v87, v85
	v_dual_add_f32 v0, v1, v0 :: v_dual_fmamk_f32 v1, v107, 0xbeb58ec6, v33
	v_dual_sub_f32 v113, v95, v106 :: v_dual_add_f32 v16, v104, v92
	v_fma_f32 v32, 0x3f116cb1, v94, -v32
	v_fma_f32 v33, 0xbeb58ec6, v107, -v33
	s_delay_alu instid0(VALU_DEP_4)
	v_add_f32_e32 v0, v1, v0
	v_mul_f32_e32 v1, v5, v90
	v_fma_f32 v5, 0xbf788fa5, v10, -v34
	v_fmac_f32_e32 v108, v2, v88
	v_fma_f32 v2, 0x3f62ad3f, v11, -v35
	v_mul_f32_e32 v115, 0xbf6f5d39, v113
	v_fma_f32 v88, v4, v91, -v1
	v_add_f32_e32 v1, v84, v5
	v_sub_f32_e32 v6, v108, v109
	v_sub_f32_e32 v90, v97, v18
	;; [unrolled: 1-line block ×3, first 2 shown]
	v_add_f32_e32 v14, v21, v96
	v_add_f32_e32 v112, v88, v89
	;; [unrolled: 1-line block ×3, first 2 shown]
	v_mul_f32_e32 v3, 0xbf29c268, v90
	v_mul_f32_e32 v4, 0x3f7e222b, v6
	v_mul_f32_e32 v5, 0x3f52af12, v91
	v_fmac_f32_e32 v34, 0xbf788fa5, v10
	v_fmac_f32_e32 v35, 0x3f62ad3f, v11
	v_fma_f32 v2, 0xbf3f9e67, v14, -v3
	v_fmamk_f32 v17, v112, 0x3df6dbef, v4
	v_fma_f32 v114, 0x3f116cb1, v15, -v5
	v_fmac_f32_e32 v3, 0xbf3f9e67, v14
	s_delay_alu instid0(VALU_DEP_4) | instskip(NEXT) | instid1(VALU_DEP_4)
	v_dual_fmac_f32 v5, 0x3f116cb1, v15 :: v_dual_add_f32 v2, v2, v1
	v_add_f32_e32 v1, v17, v0
	v_add_f32_e32 v0, v85, v103
	v_fma_f32 v17, 0x3f62ad3f, v36, -v19
	s_delay_alu instid0(VALU_DEP_4) | instskip(SKIP_2) | instid1(VALU_DEP_4)
	v_dual_sub_f32 v103, v89, v88 :: v_dual_add_f32 v2, v114, v2
	v_mul_f32_e32 v117, 0x3df6dbef, v36
	v_fma_f32 v19, 0xbeb58ec6, v16, -v115
	v_add_f32_e32 v0, v17, v0
	v_dual_add_f32 v17, v109, v108 :: v_dual_add_f32 v34, v84, v34
	v_fma_f32 v4, 0x3df6dbef, v112, -v4
	v_mul_f32_e32 v116, 0xbf3f9e67, v38
	s_delay_alu instid0(VALU_DEP_4) | instskip(SKIP_2) | instid1(VALU_DEP_3)
	v_add_f32_e32 v0, v37, v0
	v_add_f32_e32 v2, v19, v2
	v_dual_add_f32 v34, v35, v34 :: v_dual_fmac_f32 v115, 0xbeb58ec6, v16
	v_dual_mul_f32 v119, 0xbf788fa5, v94 :: v_dual_add_f32 v32, v32, v0
	v_mul_f32_e32 v114, 0x3f7e222b, v103
	v_mul_f32_e32 v125, 0x3eedf032, v113
	;; [unrolled: 1-line block ×3, first 2 shown]
	v_dual_mul_f32 v123, 0xbeb58ec6, v112 :: v_dual_mul_f32 v124, 0xbeb58ec6, v38
	s_delay_alu instid0(VALU_DEP_4) | instskip(SKIP_3) | instid1(VALU_DEP_4)
	v_fma_f32 v19, 0x3df6dbef, v17, -v114
	v_fmamk_f32 v35, v11, 0xbf3f9e67, v174
	v_mul_f32_e32 v184, 0x3e750f2a, v113
	v_mul_f32_e32 v180, 0xbf7e222b, v91
	v_dual_mul_f32 v187, 0x3f52af12, v103 :: v_dual_add_f32 v0, v19, v2
	v_dual_add_f32 v2, v3, v34 :: v_dual_fmamk_f32 v19, v13, 0x3f29c268, v116
	v_fmamk_f32 v34, v16, 0x3f62ad3f, v125
	v_mul_f32_e32 v182, 0x3f116cb1, v112
	v_dual_mul_f32 v196, 0xbf52af12, v113 :: v_dual_mul_f32 v201, 0xbf52af12, v110
	s_delay_alu instid0(VALU_DEP_4)
	v_add_f32_e32 v2, v5, v2
	v_add_f32_e32 v5, v85, v19
	;; [unrolled: 1-line block ×3, first 2 shown]
	v_fmamk_f32 v19, v12, 0xbf7e222b, v117
	v_fmamk_f32 v32, v11, 0x3df6dbef, v120
	v_add_f32_e32 v2, v115, v2
	v_mul_f32_e32 v115, 0xbf29c268, v110
	s_delay_alu instid0(VALU_DEP_4) | instskip(SKIP_2) | instid1(VALU_DEP_4)
	v_dual_add_f32 v3, v4, v3 :: v_dual_add_f32 v4, v19, v5
	v_fmamk_f32 v33, v13, 0x3f6f5d39, v124
	v_dual_mul_f32 v195, 0x3f116cb1, v38 :: v_dual_fmamk_f32 v204, v10, 0x3f116cb1, v201
	v_fmamk_f32 v19, v10, 0xbf3f9e67, v115
	v_mul_f32_e32 v129, 0xbf6f5d39, v110
	v_mul_f32_e32 v193, 0x3f6f5d39, v90
	v_fmamk_f32 v199, v16, 0x3f116cb1, v196
	v_add_f32_e32 v204, v84, v204
	v_add_f32_e32 v19, v84, v19
	v_fmamk_f32 v5, v9, 0x3f52af12, v118
	v_fmac_f32_e32 v114, 0x3df6dbef, v17
	v_mul_f32_e32 v186, 0xbeb58ec6, v98
	v_dual_mul_f32 v188, 0xbf7e222b, v110 :: v_dual_fmamk_f32 v209, v7, 0xbf7e222b, v206
	s_delay_alu instid0(VALU_DEP_4) | instskip(SKIP_3) | instid1(VALU_DEP_3)
	v_dual_add_f32 v4, v5, v4 :: v_dual_fmamk_f32 v5, v8, 0xbe750f2a, v119
	v_mul_f32_e32 v121, 0x3f62ad3f, v107
	v_dual_add_f32 v19, v32, v19 :: v_dual_mul_f32 v122, 0xbf52af12, v90
	v_add_f32_e32 v2, v114, v2
	v_dual_add_f32 v4, v5, v4 :: v_dual_fmamk_f32 v5, v7, 0xbeedf032, v121
	v_fmamk_f32 v37, v7, 0xbe750f2a, v175
	s_delay_alu instid0(VALU_DEP_4) | instskip(SKIP_3) | instid1(VALU_DEP_4)
	v_fmamk_f32 v32, v14, 0x3f116cb1, v122
	v_mul_f32_e32 v183, 0x3df6dbef, v38
	v_mul_f32_e32 v211, 0x3f116cb1, v36
	v_add_f32_e32 v4, v5, v4
	v_dual_mul_f32 v202, 0xbf3f9e67, v94 :: v_dual_add_f32 v5, v32, v19
	v_fmamk_f32 v32, v6, 0x3f6f5d39, v123
	v_mul_f32_e32 v114, 0x3e750f2a, v91
	v_fmamk_f32 v212, v12, 0x3f52af12, v211
	v_fmamk_f32 v197, v13, 0x3f52af12, v195
	v_mul_f32_e32 v213, 0x3eedf032, v103
	v_fmac_f32_e32 v117, 0x3f7e222b, v12
	v_fmamk_f32 v19, v15, 0xbf788fa5, v114
	v_mul_f32_e32 v205, 0xbf6f5d39, v111
	v_dual_mul_f32 v198, 0xbeb58ec6, v36 :: v_dual_add_f32 v101, v84, v101
	v_fmac_f32_e32 v116, 0xbf29c268, v13
	s_delay_alu instid0(VALU_DEP_4) | instskip(NEXT) | instid1(VALU_DEP_4)
	v_add_f32_e32 v19, v19, v5
	v_fmamk_f32 v207, v11, 0xbeb58ec6, v205
	v_dual_add_f32 v5, v32, v4 :: v_dual_add_f32 v4, v85, v33
	s_delay_alu instid0(VALU_DEP_3) | instskip(SKIP_3) | instid1(VALU_DEP_4)
	v_dual_fmamk_f32 v32, v12, 0xbf29c268, v126 :: v_dual_add_f32 v19, v34, v19
	v_fmamk_f32 v34, v10, 0xbeb58ec6, v129
	v_fmac_f32_e32 v118, 0xbf52af12, v9
	v_fmac_f32_e32 v124, 0xbf6f5d39, v13
	v_add_f32_e32 v4, v32, v4
	v_fmamk_f32 v32, v9, 0xbeedf032, v127
	v_mul_f32_e32 v173, 0x3df6dbef, v94
	v_add_f32_e32 v34, v84, v34
	v_fmac_f32_e32 v126, 0x3f29c268, v12
	v_fmac_f32_e32 v206, 0x3f7e222b, v7
	v_add_f32_e32 v4, v32, v4
	v_fmamk_f32 v32, v8, 0x3f7e222b, v173
	s_delay_alu instid0(VALU_DEP_1) | instskip(NEXT) | instid1(VALU_DEP_1)
	v_add_f32_e32 v32, v32, v4
	v_add_f32_e32 v32, v37, v32
	v_mul_f32_e32 v128, 0xbf6f5d39, v103
	v_fmamk_f32 v37, v16, 0xbf788fa5, v184
	v_mul_f32_e32 v176, 0x3eedf032, v90
	s_delay_alu instid0(VALU_DEP_3) | instskip(NEXT) | instid1(VALU_DEP_1)
	v_fmamk_f32 v33, v17, 0xbeb58ec6, v128
	v_dual_add_f32 v4, v33, v19 :: v_dual_fmamk_f32 v33, v14, 0x3f62ad3f, v176
	v_dual_add_f32 v19, v35, v34 :: v_dual_fmamk_f32 v34, v6, 0xbf52af12, v182
	v_fmamk_f32 v35, v13, 0x3f7e222b, v183
	v_fmac_f32_e32 v183, 0xbf7e222b, v13
	s_delay_alu instid0(VALU_DEP_3) | instskip(SKIP_1) | instid1(VALU_DEP_1)
	v_add_f32_e32 v19, v33, v19
	v_fmamk_f32 v33, v15, 0x3df6dbef, v180
	v_add_f32_e32 v19, v33, v19
	v_dual_add_f32 v33, v34, v32 :: v_dual_add_f32 v32, v85, v35
	v_fmamk_f32 v34, v12, 0x3e750f2a, v185
	v_fmac_f32_e32 v185, 0xbe750f2a, v12
	s_delay_alu instid0(VALU_DEP_2) | instskip(SKIP_1) | instid1(VALU_DEP_1)
	v_add_f32_e32 v32, v34, v32
	v_fmamk_f32 v34, v9, 0xbf6f5d39, v186
	v_dual_add_f32 v32, v34, v32 :: v_dual_add_f32 v19, v37, v19
	v_mul_f32_e32 v189, 0x3f62ad3f, v94
	v_fmamk_f32 v37, v10, 0x3df6dbef, v188
	s_delay_alu instid0(VALU_DEP_2) | instskip(NEXT) | instid1(VALU_DEP_1)
	v_fmamk_f32 v34, v8, 0xbeedf032, v189
	v_dual_add_f32 v37, v84, v37 :: v_dual_add_f32 v34, v34, v32
	v_fmamk_f32 v35, v17, 0x3f116cb1, v187
	v_mul_f32_e32 v191, 0x3f116cb1, v107
	v_mul_f32_e32 v107, 0xbf3f9e67, v107
	v_fmac_f32_e32 v182, 0x3f52af12, v6
	s_delay_alu instid0(VALU_DEP_4) | instskip(SKIP_3) | instid1(VALU_DEP_3)
	v_dual_add_f32 v32, v35, v19 :: v_dual_add_f32 v19, v192, v37
	v_fmamk_f32 v35, v14, 0xbeb58ec6, v193
	v_mul_f32_e32 v192, 0x3eedf032, v91
	v_fmamk_f32 v194, v7, 0x3f52af12, v191
	v_dual_fmac_f32 v186, 0x3f6f5d39, v9 :: v_dual_add_f32 v19, v35, v19
	s_delay_alu instid0(VALU_DEP_2) | instskip(NEXT) | instid1(VALU_DEP_1)
	v_dual_fmamk_f32 v35, v15, 0x3f62ad3f, v192 :: v_dual_add_f32 v34, v194, v34
	v_add_f32_e32 v19, v35, v19
	s_delay_alu instid0(VALU_DEP_1) | instskip(SKIP_1) | instid1(VALU_DEP_1)
	v_add_f32_e32 v19, v199, v19
	v_mul_f32_e32 v199, 0xbf29c268, v103
	v_dual_mul_f32 v194, 0xbf3f9e67, v112 :: v_dual_fmamk_f32 v203, v17, 0xbf3f9e67, v199
	s_delay_alu instid0(VALU_DEP_1) | instskip(SKIP_1) | instid1(VALU_DEP_2)
	v_fmamk_f32 v37, v6, 0x3f29c268, v194
	v_fmac_f32_e32 v194, 0xbf29c268, v6
	v_add_f32_e32 v35, v37, v34
	v_dual_add_f32 v34, v85, v197 :: v_dual_fmamk_f32 v37, v12, 0x3f6f5d39, v198
	v_mul_f32_e32 v197, 0xbf788fa5, v98
	v_mul_f32_e32 v98, 0x3df6dbef, v98
	v_fmac_f32_e32 v198, 0xbf6f5d39, v12
	s_delay_alu instid0(VALU_DEP_4) | instskip(NEXT) | instid1(VALU_DEP_4)
	v_add_f32_e32 v34, v37, v34
	v_fmamk_f32 v37, v9, 0x3e750f2a, v197
	s_delay_alu instid0(VALU_DEP_1) | instskip(NEXT) | instid1(VALU_DEP_1)
	v_dual_add_f32 v34, v37, v34 :: v_dual_fmamk_f32 v37, v8, 0xbf29c268, v202
	v_dual_add_f32 v37, v37, v34 :: v_dual_add_f32 v34, v203, v19
	v_dual_add_f32 v19, v207, v204 :: v_dual_mul_f32 v204, 0x3f29c268, v91
	v_mul_f32_e32 v207, 0x3f62ad3f, v38
	s_delay_alu instid0(VALU_DEP_3) | instskip(SKIP_1) | instid1(VALU_DEP_4)
	v_add_f32_e32 v37, v209, v37
	v_mul_f32_e32 v209, 0x3f62ad3f, v112
	v_fmamk_f32 v38, v15, 0xbf3f9e67, v204
	v_mul_f32_e32 v208, 0xbe750f2a, v90
	s_delay_alu instid0(VALU_DEP_3) | instskip(NEXT) | instid1(VALU_DEP_2)
	v_fmamk_f32 v36, v6, 0xbeedf032, v209
	v_fmamk_f32 v203, v14, 0xbf788fa5, v208
	s_delay_alu instid0(VALU_DEP_2) | instskip(NEXT) | instid1(VALU_DEP_2)
	v_add_f32_e32 v37, v36, v37
	v_add_f32_e32 v19, v203, v19
	v_mul_f32_e32 v203, 0x3f7e222b, v113
	s_delay_alu instid0(VALU_DEP_2) | instskip(NEXT) | instid1(VALU_DEP_2)
	v_dual_fmac_f32 v202, 0x3f29c268, v8 :: v_dual_add_f32 v19, v38, v19
	v_fmamk_f32 v38, v16, 0x3df6dbef, v203
	s_delay_alu instid0(VALU_DEP_1) | instskip(NEXT) | instid1(VALU_DEP_1)
	v_dual_fmamk_f32 v210, v13, 0x3eedf032, v207 :: v_dual_add_f32 v19, v38, v19
	v_add_f32_e32 v210, v85, v210
	v_fmamk_f32 v38, v9, 0x3f7e222b, v98
	s_delay_alu instid0(VALU_DEP_2) | instskip(SKIP_1) | instid1(VALU_DEP_2)
	v_add_f32_e32 v36, v212, v210
	v_fmamk_f32 v210, v17, 0x3f62ad3f, v213
	v_dual_fmac_f32 v207, 0xbeedf032, v13 :: v_dual_add_f32 v38, v38, v36
	s_delay_alu instid0(VALU_DEP_2) | instskip(SKIP_2) | instid1(VALU_DEP_2)
	v_add_f32_e32 v36, v210, v19
	v_add_f32_e32 v19, v39, v87
	;; [unrolled: 1-line block ×4, first 2 shown]
	s_delay_alu instid0(VALU_DEP_2) | instskip(SKIP_2) | instid1(VALU_DEP_4)
	v_dual_add_f32 v39, v96, v39 :: v_dual_mul_f32 v94, 0xbeb58ec6, v94
	v_mul_f32_e32 v96, 0xbf52af12, v111
	v_fma_f32 v97, 0x3f62ad3f, v15, -v192
	v_add_f32_e32 v19, v93, v19
	s_delay_alu instid0(VALU_DEP_4) | instskip(SKIP_1) | instid1(VALU_DEP_3)
	v_dual_add_f32 v39, v99, v39 :: v_dual_fmamk_f32 v212, v8, 0x3f6f5d39, v94
	v_mul_f32_e32 v90, 0xbf7e222b, v90
	v_dual_fmac_f32 v98, 0xbf7e222b, v9 :: v_dual_add_f32 v19, v95, v19
	s_delay_alu instid0(VALU_DEP_3) | instskip(NEXT) | instid1(VALU_DEP_4)
	v_add_f32_e32 v39, v92, v39
	v_add_f32_e32 v38, v212, v38
	v_fma_f32 v95, 0xbf788fa5, v11, -v190
	v_fma_f32 v99, 0xbf3f9e67, v17, -v199
	v_add_f32_e32 v19, v89, v19
	v_mul_f32_e32 v89, 0xbf6f5d39, v91
	v_mul_f32_e32 v91, 0xbf788fa5, v112
	v_dual_add_f32 v39, v108, v39 :: v_dual_fmac_f32 v94, 0xbf6f5d39, v8
	s_delay_alu instid0(VALU_DEP_4) | instskip(NEXT) | instid1(VALU_DEP_2)
	v_dual_add_f32 v19, v88, v19 :: v_dual_mul_f32 v88, 0xbf29c268, v113
	v_dual_fmamk_f32 v92, v6, 0x3e750f2a, v91 :: v_dual_add_f32 v39, v109, v39
	s_delay_alu instid0(VALU_DEP_2) | instskip(NEXT) | instid1(VALU_DEP_2)
	v_add_f32_e32 v19, v106, v19
	v_add_f32_e32 v39, v104, v39
	s_delay_alu instid0(VALU_DEP_2) | instskip(SKIP_1) | instid1(VALU_DEP_3)
	v_add_f32_e32 v19, v105, v19
	v_mul_f32_e32 v101, 0xbeedf032, v110
	v_add_f32_e32 v39, v102, v39
	s_delay_alu instid0(VALU_DEP_3) | instskip(NEXT) | instid1(VALU_DEP_3)
	v_add_f32_e32 v18, v18, v19
	v_fmamk_f32 v86, v10, 0x3f62ad3f, v101
	v_fmamk_f32 v87, v7, 0x3f29c268, v107
	s_delay_alu instid0(VALU_DEP_4) | instskip(SKIP_1) | instid1(VALU_DEP_4)
	v_add_f32_e32 v21, v21, v39
	v_add_f32_e32 v39, v85, v116
	v_dual_fmamk_f32 v93, v11, 0x3f116cb1, v96 :: v_dual_add_f32 v86, v84, v86
	v_add_f32_e32 v20, v20, v18
	v_add_f32_e32 v38, v87, v38
	v_add_f32_e32 v23, v23, v21
	v_fmamk_f32 v87, v14, 0x3df6dbef, v90
	v_fmac_f32_e32 v209, 0x3eedf032, v6
	v_add_f32_e32 v21, v22, v20
	v_dual_add_f32 v19, v92, v38 :: v_dual_add_f32 v92, v85, v183
	v_add_f32_e32 v38, v117, v39
	v_add_f32_e32 v86, v93, v86
	v_fma_f32 v22, 0xbf3f9e67, v10, -v115
	v_add_f32_e32 v20, v100, v23
	s_delay_alu instid0(VALU_DEP_4) | instskip(NEXT) | instid1(VALU_DEP_4)
	v_dual_add_f32 v92, v185, v92 :: v_dual_add_f32 v23, v118, v38
	v_add_f32_e32 v86, v87, v86
	s_delay_alu instid0(VALU_DEP_4) | instskip(SKIP_3) | instid1(VALU_DEP_4)
	v_dual_fmamk_f32 v87, v15, 0xbeb58ec6, v89 :: v_dual_add_f32 v22, v84, v22
	v_fma_f32 v38, 0x3df6dbef, v11, -v120
	v_fma_f32 v100, 0xbeb58ec6, v11, -v205
	v_dual_fmac_f32 v127, 0x3eedf032, v9 :: v_dual_add_f32 v92, v186, v92
	v_dual_add_f32 v86, v87, v86 :: v_dual_fmamk_f32 v87, v16, 0xbf3f9e67, v88
	s_delay_alu instid0(VALU_DEP_4) | instskip(SKIP_2) | instid1(VALU_DEP_4)
	v_add_f32_e32 v22, v38, v22
	v_fma_f32 v38, 0x3f116cb1, v14, -v122
	v_mul_f32_e32 v93, 0xbe750f2a, v103
	v_dual_fmac_f32 v211, 0xbf52af12, v12 :: v_dual_add_f32 v86, v87, v86
	v_fma_f32 v12, 0xbf3f9e67, v15, -v204
	s_delay_alu instid0(VALU_DEP_4) | instskip(SKIP_1) | instid1(VALU_DEP_1)
	v_add_f32_e32 v22, v38, v22
	v_fma_f32 v38, 0xbf788fa5, v15, -v114
	v_dual_fmac_f32 v107, 0xbf29c268, v7 :: v_dual_add_f32 v22, v38, v22
	v_fma_f32 v38, 0x3f62ad3f, v16, -v125
	s_delay_alu instid0(VALU_DEP_1) | instskip(NEXT) | instid1(VALU_DEP_1)
	v_dual_fmamk_f32 v87, v17, 0xbf788fa5, v93 :: v_dual_add_f32 v22, v38, v22
	v_add_f32_e32 v18, v87, v86
	v_fma_f32 v86, 0xbeb58ec6, v10, -v129
	v_fma_f32 v87, 0xbf3f9e67, v11, -v174
	;; [unrolled: 1-line block ×4, first 2 shown]
	v_fmac_f32_e32 v91, 0xbe750f2a, v6
	v_add_f32_e32 v86, v84, v86
	s_delay_alu instid0(VALU_DEP_4) | instskip(SKIP_1) | instid1(VALU_DEP_3)
	v_add_f32_e32 v22, v38, v22
	v_fma_f32 v38, 0x3df6dbef, v10, -v188
	v_dual_fmac_f32 v119, 0x3e750f2a, v8 :: v_dual_add_f32 v86, v87, v86
	v_fma_f32 v87, 0x3f62ad3f, v14, -v176
	s_delay_alu instid0(VALU_DEP_3) | instskip(NEXT) | instid1(VALU_DEP_3)
	v_dual_add_f32 v38, v84, v38 :: v_dual_fmac_f32 v121, 0x3eedf032, v7
	v_add_f32_e32 v23, v119, v23
	s_delay_alu instid0(VALU_DEP_3) | instskip(SKIP_1) | instid1(VALU_DEP_4)
	v_add_f32_e32 v86, v87, v86
	v_fma_f32 v87, 0x3df6dbef, v15, -v180
	v_dual_add_f32 v39, v85, v124 :: v_dual_add_f32 v38, v95, v38
	v_fma_f32 v95, 0xbeb58ec6, v14, -v193
	s_delay_alu instid0(VALU_DEP_3) | instskip(SKIP_1) | instid1(VALU_DEP_4)
	v_add_f32_e32 v86, v87, v86
	v_fma_f32 v87, 0xbf788fa5, v16, -v184
	v_add_f32_e32 v39, v126, v39
	s_delay_alu instid0(VALU_DEP_4) | instskip(NEXT) | instid1(VALU_DEP_3)
	v_add_f32_e32 v95, v95, v38
	v_add_f32_e32 v86, v87, v86
	v_fma_f32 v87, 0x3f116cb1, v17, -v187
	v_add_f32_e32 v23, v121, v23
	v_add_f32_e32 v39, v127, v39
	s_delay_alu instid0(VALU_DEP_3) | instskip(SKIP_2) | instid1(VALU_DEP_2)
	v_dual_add_f32 v38, v87, v86 :: v_dual_add_f32 v87, v97, v95
	v_fma_f32 v97, 0x3f116cb1, v10, -v201
	v_fma_f32 v10, 0x3f62ad3f, v10, -v101
	v_add_f32_e32 v97, v84, v97
	s_delay_alu instid0(VALU_DEP_2) | instskip(NEXT) | instid1(VALU_DEP_1)
	v_dual_add_f32 v10, v84, v10 :: v_dual_fmac_f32 v195, 0xbf52af12, v13
	v_dual_add_f32 v10, v11, v10 :: v_dual_add_f32 v95, v85, v195
	v_add_f32_e32 v85, v85, v207
	v_fmac_f32_e32 v189, 0x3eedf032, v8
	v_fma_f32 v11, 0x3df6dbef, v14, -v90
	s_delay_alu instid0(VALU_DEP_3) | instskip(NEXT) | instid1(VALU_DEP_3)
	v_dual_add_f32 v95, v198, v95 :: v_dual_add_f32 v84, v211, v85
	v_dual_fmac_f32 v123, 0xbf6f5d39, v6 :: v_dual_add_f32 v86, v189, v92
	v_fmac_f32_e32 v191, 0xbf52af12, v7
	v_fmac_f32_e32 v173, 0xbf7e222b, v8
	v_fma_f32 v92, 0x3f116cb1, v16, -v196
	s_delay_alu instid0(VALU_DEP_4) | instskip(SKIP_1) | instid1(VALU_DEP_4)
	v_add_f32_e32 v23, v123, v23
	v_add_f32_e32 v8, v11, v10
	v_dual_add_f32 v86, v191, v86 :: v_dual_add_f32 v39, v173, v39
	s_delay_alu instid0(VALU_DEP_4) | instskip(SKIP_2) | instid1(VALU_DEP_3)
	v_add_f32_e32 v92, v92, v87
	v_fmac_f32_e32 v175, 0x3e750f2a, v7
	v_fma_f32 v10, 0xbeb58ec6, v15, -v89
	v_dual_add_f32 v87, v194, v86 :: v_dual_add_f32 v86, v99, v92
	s_delay_alu instid0(VALU_DEP_3) | instskip(SKIP_1) | instid1(VALU_DEP_4)
	v_dual_add_f32 v39, v175, v39 :: v_dual_add_f32 v92, v100, v97
	v_fma_f32 v97, 0xbf788fa5, v14, -v208
	v_add_f32_e32 v7, v10, v8
	v_fma_f32 v8, 0xbf3f9e67, v16, -v88
	s_delay_alu instid0(VALU_DEP_4) | instskip(NEXT) | instid1(VALU_DEP_4)
	v_add_f32_e32 v39, v182, v39
	v_dual_fmac_f32 v197, 0xbe750f2a, v9 :: v_dual_add_f32 v92, v97, v92
	v_add_f32_e32 v14, v98, v84
	s_delay_alu instid0(VALU_DEP_4) | instskip(SKIP_1) | instid1(VALU_DEP_4)
	v_add_f32_e32 v8, v8, v7
	v_fma_f32 v10, 0x3f62ad3f, v17, -v213
	v_add_f32_e32 v9, v12, v92
	v_fma_f32 v12, 0x3df6dbef, v16, -v203
	;; [unrolled: 2-line block ×3, first 2 shown]
	s_delay_alu instid0(VALU_DEP_3) | instskip(SKIP_2) | instid1(VALU_DEP_4)
	v_add_f32_e32 v9, v12, v9
	v_add_f32_e32 v95, v197, v95
	v_mul_u32_u24_e32 v12, 52, v181
	v_dual_add_f32 v11, v107, v11 :: v_dual_add_f32 v8, v14, v8
	s_delay_alu instid0(VALU_DEP_4) | instskip(NEXT) | instid1(VALU_DEP_4)
	v_add_f32_e32 v6, v10, v9
	v_add_f32_e32 v13, v202, v95
	s_delay_alu instid0(VALU_DEP_4) | instskip(NEXT) | instid1(VALU_DEP_4)
	v_or_b32_e32 v12, v12, v179
	v_add_f32_e32 v9, v91, v11
	s_delay_alu instid0(VALU_DEP_2) | instskip(NEXT) | instid1(VALU_DEP_1)
	v_dual_add_f32 v13, v206, v13 :: v_dual_lshlrev_b32 v12, 3, v12
	v_add_f32_e32 v7, v209, v13
	ds_store_2addr_b64 v12, v[20:21], v[18:19] offset1:4
	ds_store_2addr_b64 v12, v[36:37], v[34:35] offset0:8 offset1:12
	ds_store_2addr_b64 v12, v[32:33], v[4:5] offset0:16 offset1:20
	ds_store_2addr_b64 v12, v[2:3], v[0:1] offset0:24 offset1:28
	ds_store_2addr_b64 v12, v[22:23], v[38:39] offset0:32 offset1:36
	ds_store_2addr_b64 v12, v[86:87], v[6:7] offset0:40 offset1:44
	ds_store_b64 v12, v[8:9] offset:384
.LBB0_29:
	s_wait_alu 0xfffe
	s_or_b32 exec_lo, exec_lo, s1
	global_wb scope:SCOPE_SE
	s_wait_dscnt 0x0
	s_barrier_signal -1
	s_barrier_wait -1
	global_inv scope:SCOPE_SE
	ds_load_2addr_b64 v[5:8], v177 offset0:104 offset1:156
	v_add_nc_u32_e32 v1, 0x800, v177
	v_add_nc_u32_e32 v4, 0x1000, v177
	s_mov_b32 s2, 0x1e01e01e
	s_mov_b32 s3, 0x3f4e01e0
	s_wait_dscnt 0x0
	v_mul_f32_e32 v23, v29, v8
	v_mul_f32_e32 v100, v29, v7
	ds_load_2addr_b64 v[9:12], v1 offset0:56 offset1:108
	ds_load_2addr_b64 v[13:16], v1 offset0:160 offset1:212
	v_add_nc_u32_e32 v2, 0x1400, v177
	v_add_nc_u32_e32 v0, 0x1800, v177
	ds_load_2addr_b64 v[32:35], v4 offset0:112 offset1:164
	ds_load_2addr_b64 v[17:20], v177 offset1:52
	v_add_nc_u32_e32 v3, 0x400, v177
	v_fmac_f32_e32 v23, v28, v7
	v_fma_f32 v8, v28, v8, -v100
	s_wait_dscnt 0x2
	v_dual_mul_f32 v7, v31, v10 :: v_dual_mul_f32 v102, v25, v16
	ds_load_2addr_b64 v[36:39], v2 offset0:88 offset1:140
	ds_load_b64 v[21:22], v177 offset:8320
	ds_load_2addr_b64 v[84:87], v0 offset0:168 offset1:220
	ds_load_2addr_b64 v[88:91], v3 offset0:80 offset1:132
	;; [unrolled: 1-line block ×4, first 2 shown]
	v_mul_f32_e32 v101, v31, v9
	v_mul_f32_e32 v103, v25, v15
	v_dual_fmac_f32 v7, v30, v9 :: v_dual_fmac_f32 v102, v24, v15
	global_wb scope:SCOPE_SE
	s_wait_dscnt 0x0
	v_fma_f32 v9, v30, v10, -v101
	v_fma_f32 v10, v24, v16, -v103
	v_mul_f32_e32 v16, v27, v32
	s_barrier_signal -1
	s_barrier_wait -1
	global_inv scope:SCOPE_SE
	v_fma_f32 v16, v26, v33, -v16
	v_dual_mul_f32 v100, v41, v39 :: v_dual_mul_f32 v15, v27, v33
	v_mul_f32_e32 v101, v41, v38
	s_delay_alu instid0(VALU_DEP_2) | instskip(NEXT) | instid1(VALU_DEP_3)
	v_dual_mul_f32 v33, v43, v84 :: v_dual_fmac_f32 v100, v40, v38
	v_dual_fmac_f32 v15, v26, v32 :: v_dual_mul_f32 v38, v29, v89
	v_mul_f32_e32 v29, v29, v88
	s_delay_alu instid0(VALU_DEP_2) | instskip(SKIP_4) | instid1(VALU_DEP_3)
	v_fmac_f32_e32 v38, v28, v88
	v_fma_f32 v32, v40, v39, -v101
	v_mul_f32_e32 v39, v31, v12
	v_mul_f32_e32 v31, v31, v11
	v_fma_f32 v28, v28, v89, -v29
	v_fmac_f32_e32 v39, v30, v11
	s_delay_alu instid0(VALU_DEP_3)
	v_fma_f32 v29, v30, v12, -v31
	v_mul_f32_e32 v30, v25, v93
	v_mul_f32_e32 v103, v43, v85
	;; [unrolled: 1-line block ×5, first 2 shown]
	v_fmac_f32_e32 v30, v24, v92
	v_fmac_f32_e32 v103, v42, v84
	v_fma_f32 v33, v42, v85, -v33
	v_fmac_f32_e32 v25, v26, v34
	v_fma_f32 v26, v26, v35, -v12
	v_mul_f32_e32 v31, v43, v87
	v_dual_mul_f32 v12, v43, v86 :: v_dual_mul_f32 v35, v45, v91
	v_mul_f32_e32 v34, v45, v90
	v_mul_f32_e32 v27, v41, v97
	v_fma_f32 v24, v24, v93, -v11
	v_mul_f32_e32 v11, v41, v96
	v_fmac_f32_e32 v31, v42, v86
	v_fma_f32 v41, v42, v87, -v12
	v_fmac_f32_e32 v35, v44, v90
	v_fma_f32 v42, v44, v91, -v34
	v_mul_f32_e32 v44, v53, v95
	v_dual_mul_f32 v12, v53, v94 :: v_dual_fmac_f32 v27, v40, v96
	v_fma_f32 v40, v40, v97, -v11
	v_mul_f32_e32 v43, v47, v14
	s_delay_alu instid0(VALU_DEP_4) | instskip(NEXT) | instid1(VALU_DEP_4)
	v_dual_mul_f32 v11, v47, v13 :: v_dual_fmac_f32 v44, v52, v94
	v_fma_f32 v47, v52, v95, -v12
	v_mul_f32_e32 v12, v57, v98
	v_mul_f32_e32 v52, v59, v22
	s_delay_alu instid0(VALU_DEP_2) | instskip(NEXT) | instid1(VALU_DEP_2)
	v_fma_f32 v53, v56, v99, -v12
	v_fmac_f32_e32 v52, v58, v21
	v_add_f32_e32 v12, v8, v33
	v_fmac_f32_e32 v43, v46, v13
	v_fma_f32 v46, v46, v14, -v11
	v_sub_f32_e32 v8, v8, v33
	v_mul_f32_e32 v13, v59, v21
	v_add_f32_e32 v14, v7, v100
	v_mul_f32_e32 v11, v55, v36
	v_add_f32_e32 v21, v9, v32
	v_mul_f32_e32 v45, v55, v37
	v_sub_f32_e32 v9, v9, v32
	s_delay_alu instid0(VALU_DEP_4) | instskip(NEXT) | instid1(VALU_DEP_4)
	v_fma_f32 v37, v54, v37, -v11
	v_dual_add_f32 v11, v23, v103 :: v_dual_add_f32 v32, v21, v12
	s_delay_alu instid0(VALU_DEP_4) | instskip(SKIP_3) | instid1(VALU_DEP_4)
	v_dual_fmac_f32 v45, v54, v36 :: v_dual_mul_f32 v36, v57, v99
	v_fma_f32 v54, v58, v22, -v13
	v_sub_f32_e32 v13, v23, v103
	v_dual_add_f32 v23, v10, v16 :: v_dual_sub_f32 v10, v16, v10
	v_fmac_f32_e32 v36, v56, v98
	v_add_f32_e32 v22, v102, v15
	v_sub_f32_e32 v34, v21, v12
	s_delay_alu instid0(VALU_DEP_4) | instskip(SKIP_3) | instid1(VALU_DEP_4)
	v_sub_f32_e32 v12, v12, v23
	v_add_f32_e32 v56, v10, v9
	v_dual_add_f32 v16, v14, v11 :: v_dual_sub_f32 v15, v15, v102
	v_sub_f32_e32 v33, v14, v11
	v_dual_sub_f32 v11, v11, v22 :: v_dual_mul_f32 v12, 0x3f4a47b2, v12
	v_sub_f32_e32 v14, v22, v14
	s_delay_alu instid0(VALU_DEP_4)
	v_dual_add_f32 v16, v22, v16 :: v_dual_sub_f32 v21, v23, v21
	v_sub_f32_e32 v7, v7, v100
	v_add_f32_e32 v22, v23, v32
	v_sub_f32_e32 v58, v10, v9
	v_sub_f32_e32 v10, v8, v10
	v_add_f32_e32 v23, v56, v8
	s_delay_alu instid0(VALU_DEP_4)
	v_dual_sub_f32 v9, v9, v8 :: v_dual_add_f32 v8, v18, v22
	v_dual_mul_f32 v18, 0x3d64c772, v21 :: v_dual_add_f32 v55, v15, v7
	v_sub_f32_e32 v59, v7, v13
	v_mul_f32_e32 v11, 0x3f4a47b2, v11
	v_sub_f32_e32 v57, v15, v7
	v_dual_sub_f32 v15, v13, v15 :: v_dual_fmamk_f32 v22, v22, 0xbf955555, v8
	v_add_f32_e32 v13, v55, v13
	v_add_f32_e32 v7, v17, v16
	v_mul_f32_e32 v55, 0x3f08b237, v58
	v_fma_f32 v18, 0x3f3bfb3b, v34, -v18
	s_delay_alu instid0(VALU_DEP_3)
	v_fmamk_f32 v16, v16, 0xbf955555, v7
	v_dual_mul_f32 v17, 0x3d64c772, v14 :: v_dual_fmamk_f32 v14, v14, 0x3d64c772, v11
	v_mul_f32_e32 v32, 0x3f08b237, v57
	v_fmamk_f32 v21, v21, 0x3d64c772, v12
	v_fma_f32 v12, 0xbf3bfb3b, v34, -v12
	v_fmamk_f32 v34, v10, 0xbeae86e6, v55
	v_add_f32_e32 v58, v14, v16
	v_mul_f32_e32 v56, 0xbf5ff5aa, v59
	v_fma_f32 v17, 0x3f3bfb3b, v33, -v17
	v_fma_f32 v11, 0xbf3bfb3b, v33, -v11
	s_delay_alu instid0(VALU_DEP_3) | instskip(NEXT) | instid1(VALU_DEP_1)
	v_fma_f32 v56, 0x3eae86e6, v15, -v56
	v_fmac_f32_e32 v56, 0xbee1c552, v13
	v_fmamk_f32 v33, v15, 0xbeae86e6, v32
	v_fma_f32 v32, 0xbf5ff5aa, v59, -v32
	v_add_f32_e32 v59, v21, v22
	v_add_f32_e32 v21, v12, v22
	;; [unrolled: 1-line block ×3, first 2 shown]
	v_dual_add_f32 v17, v18, v22 :: v_dual_add_f32 v18, v11, v16
	s_delay_alu instid0(VALU_DEP_3) | instskip(SKIP_2) | instid1(VALU_DEP_2)
	v_sub_f32_e32 v12, v21, v56
	v_fmac_f32_e32 v32, 0xbee1c552, v13
	v_fmac_f32_e32 v34, 0xbee1c552, v23
	v_dual_mul_f32 v57, 0xbf5ff5aa, v9 :: v_dual_sub_f32 v16, v17, v32
	v_add_f32_e32 v14, v32, v17
	s_delay_alu instid0(VALU_DEP_2) | instskip(SKIP_2) | instid1(VALU_DEP_3)
	v_fma_f32 v57, 0x3eae86e6, v10, -v57
	v_add_f32_e32 v32, v28, v41
	v_fma_f32 v55, 0xbf5ff5aa, v9, -v55
	v_dual_sub_f32 v28, v28, v41 :: v_dual_fmac_f32 v57, 0xbee1c552, v23
	s_delay_alu instid0(VALU_DEP_1) | instskip(SKIP_3) | instid1(VALU_DEP_1)
	v_add_f32_e32 v11, v57, v18
	v_sub_f32_e32 v17, v18, v57
	v_add_f32_e32 v18, v56, v21
	v_fmac_f32_e32 v33, 0xbee1c552, v13
	v_sub_f32_e32 v10, v59, v33
	v_add_f32_e32 v22, v33, v59
	v_add_f32_e32 v33, v39, v27
	;; [unrolled: 1-line block ×3, first 2 shown]
	v_sub_f32_e32 v27, v39, v27
	v_dual_add_f32 v39, v24, v26 :: v_dual_sub_f32 v24, v26, v24
	v_dual_sub_f32 v21, v58, v34 :: v_dual_add_f32 v34, v29, v40
	v_fmac_f32_e32 v55, 0xbee1c552, v23
	v_add_f32_e32 v23, v38, v31
	v_sub_f32_e32 v31, v38, v31
	v_dual_add_f32 v38, v30, v25 :: v_dual_sub_f32 v25, v25, v30
	v_add_f32_e32 v30, v34, v32
	v_dual_sub_f32 v41, v34, v32 :: v_dual_sub_f32 v32, v32, v39
	v_sub_f32_e32 v29, v29, v40
	s_delay_alu instid0(VALU_DEP_2) | instskip(NEXT) | instid1(VALU_DEP_4)
	v_mul_f32_e32 v32, 0x3f4a47b2, v32
	v_add_f32_e32 v30, v39, v30
	v_add_f32_e32 v26, v33, v23
	v_sub_f32_e32 v34, v39, v34
	s_delay_alu instid0(VALU_DEP_3) | instskip(NEXT) | instid1(VALU_DEP_3)
	v_add_f32_e32 v20, v20, v30
	v_add_f32_e32 v26, v38, v26
	v_dual_sub_f32 v40, v33, v23 :: v_dual_sub_f32 v33, v38, v33
	s_delay_alu instid0(VALU_DEP_4) | instskip(NEXT) | instid1(VALU_DEP_3)
	v_mul_f32_e32 v39, 0x3d64c772, v34
	v_dual_fmamk_f32 v30, v30, 0xbf955555, v20 :: v_dual_add_f32 v19, v19, v26
	s_delay_alu instid0(VALU_DEP_3) | instskip(SKIP_1) | instid1(VALU_DEP_3)
	v_dual_sub_f32 v23, v23, v38 :: v_dual_mul_f32 v38, 0x3d64c772, v33
	v_dual_sub_f32 v13, v15, v55 :: v_dual_add_f32 v56, v24, v29
	v_fmamk_f32 v26, v26, 0xbf955555, v19
	s_delay_alu instid0(VALU_DEP_3) | instskip(SKIP_2) | instid1(VALU_DEP_3)
	v_mul_f32_e32 v23, 0x3f4a47b2, v23
	v_dual_add_f32 v15, v55, v15 :: v_dual_sub_f32 v58, v24, v29
	v_sub_f32_e32 v24, v28, v24
	v_dual_fmamk_f32 v34, v34, 0x3d64c772, v32 :: v_dual_fmamk_f32 v33, v33, 0x3d64c772, v23
	v_fma_f32 v23, 0xbf3bfb3b, v40, -v23
	v_sub_f32_e32 v29, v29, v28
	v_add_f32_e32 v28, v56, v28
	v_mul_f32_e32 v56, 0x3f08b237, v58
	v_fma_f32 v38, 0x3f3bfb3b, v40, -v38
	v_fma_f32 v32, 0xbf3bfb3b, v41, -v32
	v_dual_mul_f32 v58, 0xbf5ff5aa, v29 :: v_dual_add_f32 v55, v25, v27
	v_sub_f32_e32 v57, v25, v27
	s_delay_alu instid0(VALU_DEP_4) | instskip(SKIP_1) | instid1(VALU_DEP_4)
	v_dual_sub_f32 v27, v27, v31 :: v_dual_add_f32 v38, v38, v26
	v_dual_sub_f32 v25, v31, v25 :: v_dual_add_f32 v34, v34, v30
	v_dual_add_f32 v31, v55, v31 :: v_dual_add_f32 v32, v32, v30
	s_delay_alu instid0(VALU_DEP_4) | instskip(NEXT) | instid1(VALU_DEP_4)
	v_mul_f32_e32 v55, 0x3f08b237, v57
	v_mul_f32_e32 v57, 0xbf5ff5aa, v27
	v_fma_f32 v39, 0x3f3bfb3b, v41, -v39
	v_fma_f32 v29, 0xbf5ff5aa, v29, -v56
	s_delay_alu instid0(VALU_DEP_2)
	v_add_f32_e32 v39, v39, v30
	v_fmamk_f32 v41, v24, 0xbeae86e6, v56
	v_fma_f32 v56, 0x3eae86e6, v25, -v57
	v_add_f32_e32 v33, v33, v26
	v_fma_f32 v57, 0x3eae86e6, v24, -v58
	v_dual_add_f32 v58, v23, v26 :: v_dual_fmac_f32 v29, 0xbee1c552, v28
	s_delay_alu instid0(VALU_DEP_2) | instskip(NEXT) | instid1(VALU_DEP_1)
	v_dual_fmac_f32 v56, 0xbee1c552, v31 :: v_dual_fmac_f32 v57, 0xbee1c552, v28
	v_sub_f32_e32 v26, v32, v56
	v_add_f32_e32 v32, v56, v32
	v_fmamk_f32 v40, v25, 0xbeae86e6, v55
	v_fma_f32 v55, 0xbf5ff5aa, v27, -v55
	v_sub_f32_e32 v27, v38, v29
	v_dual_add_f32 v29, v29, v38 :: v_dual_add_f32 v38, v35, v52
	s_delay_alu instid0(VALU_DEP_4) | instskip(NEXT) | instid1(VALU_DEP_4)
	v_fmac_f32_e32 v40, 0xbee1c552, v31
	v_fmac_f32_e32 v55, 0xbee1c552, v31
	ds_store_2addr_b64 v177, v[7:8], v[9:10] offset1:52
	ds_store_2addr_b64 v177, v[11:12], v[13:14] offset0:104 offset1:156
	ds_store_2addr_b64 v3, v[15:16], v[17:18] offset0:80 offset1:132
	;; [unrolled: 1-line block ×3, first 2 shown]
	v_add_nc_u32_e32 v7, 0x1400, v200
	v_add_nc_u32_e32 v8, 0x1800, v200
	v_sub_f32_e32 v24, v34, v40
	v_dual_sub_f32 v30, v39, v55 :: v_dual_fmac_f32 v41, 0xbee1c552, v28
	v_add_f32_e32 v28, v55, v39
	v_add_f32_e32 v34, v40, v34
	s_delay_alu instid0(VALU_DEP_3)
	v_dual_sub_f32 v40, v42, v54 :: v_dual_add_f32 v23, v41, v33
	v_sub_f32_e32 v33, v33, v41
	v_add_f32_e32 v41, v43, v36
	v_dual_sub_f32 v36, v43, v36 :: v_dual_sub_f32 v43, v46, v53
	v_sub_f32_e32 v35, v35, v52
	v_dual_add_f32 v52, v47, v37 :: v_dual_sub_f32 v37, v37, v47
	v_add_f32_e32 v39, v42, v54
	v_add_f32_e32 v42, v46, v53
	;; [unrolled: 1-line block ×3, first 2 shown]
	v_sub_f32_e32 v44, v45, v44
	v_add_f32_e32 v56, v37, v43
	s_delay_alu instid0(VALU_DEP_4) | instskip(SKIP_1) | instid1(VALU_DEP_4)
	v_dual_add_f32 v25, v57, v58 :: v_dual_sub_f32 v54, v42, v39
	v_sub_f32_e32 v31, v58, v57
	v_dual_sub_f32 v57, v44, v36 :: v_dual_sub_f32 v58, v37, v43
	v_add_f32_e32 v55, v44, v36
	v_dual_sub_f32 v36, v36, v35 :: v_dual_add_f32 v45, v41, v38
	v_sub_f32_e32 v53, v41, v38
	v_sub_f32_e32 v38, v38, v46
	v_dual_add_f32 v47, v42, v39 :: v_dual_sub_f32 v42, v52, v42
	v_sub_f32_e32 v41, v46, v41
	s_delay_alu instid0(VALU_DEP_3) | instskip(NEXT) | instid1(VALU_DEP_3)
	v_dual_add_f32 v45, v46, v45 :: v_dual_mul_f32 v38, 0x3f4a47b2, v38
	v_dual_add_f32 v46, v52, v47 :: v_dual_sub_f32 v39, v39, v52
	s_delay_alu instid0(VALU_DEP_4) | instskip(SKIP_1) | instid1(VALU_DEP_3)
	v_mul_f32_e32 v52, 0x3d64c772, v42
	v_sub_f32_e32 v44, v35, v44
	v_dual_add_f32 v6, v6, v46 :: v_dual_mul_f32 v39, 0x3f4a47b2, v39
	s_delay_alu instid0(VALU_DEP_3) | instskip(NEXT) | instid1(VALU_DEP_2)
	v_fma_f32 v52, 0x3f3bfb3b, v54, -v52
	v_dual_fmamk_f32 v46, v46, 0xbf955555, v6 :: v_dual_sub_f32 v43, v43, v40
	s_delay_alu instid0(VALU_DEP_3) | instskip(SKIP_2) | instid1(VALU_DEP_4)
	v_dual_fmamk_f32 v42, v42, 0x3d64c772, v39 :: v_dual_sub_f32 v37, v40, v37
	v_add_f32_e32 v40, v56, v40
	v_mul_f32_e32 v56, 0x3f08b237, v58
	v_mul_f32_e32 v58, 0xbf5ff5aa, v43
	v_fma_f32 v39, 0xbf3bfb3b, v54, -v39
	s_delay_alu instid0(VALU_DEP_3)
	v_dual_fmamk_f32 v54, v37, 0xbeae86e6, v56 :: v_dual_add_f32 v35, v55, v35
	v_add_f32_e32 v5, v5, v45
	v_fma_f32 v43, 0xbf5ff5aa, v43, -v56
	v_fma_f32 v56, 0x3eae86e6, v37, -v58
	v_add_f32_e32 v58, v42, v46
	v_add_f32_e32 v42, v52, v46
	v_dual_add_f32 v46, v39, v46 :: v_dual_mul_f32 v47, 0x3d64c772, v41
	v_mul_f32_e32 v55, 0x3f08b237, v57
	v_mul_f32_e32 v57, 0xbf5ff5aa, v36
	v_fmamk_f32 v45, v45, 0xbf955555, v5
	v_fmamk_f32 v41, v41, 0x3d64c772, v38
	v_fma_f32 v47, 0x3f3bfb3b, v53, -v47
	v_fma_f32 v38, 0xbf3bfb3b, v53, -v38
	v_fmamk_f32 v53, v44, 0xbeae86e6, v55
	v_fma_f32 v44, 0x3eae86e6, v44, -v57
	v_dual_add_f32 v57, v41, v45 :: v_dual_fmac_f32 v56, 0xbee1c552, v40
	v_dual_fmac_f32 v54, 0xbee1c552, v40 :: v_dual_add_f32 v41, v47, v45
	s_delay_alu instid0(VALU_DEP_3) | instskip(SKIP_3) | instid1(VALU_DEP_4)
	v_fmac_f32_e32 v44, 0xbee1c552, v35
	v_fmac_f32_e32 v53, 0xbee1c552, v35
	v_add_f32_e32 v45, v38, v45
	v_fmac_f32_e32 v43, 0xbee1c552, v40
	v_sub_f32_e32 v38, v46, v44
	v_add_f32_e32 v44, v44, v46
	v_fma_f32 v55, 0xbf5ff5aa, v36, -v55
	s_delay_alu instid0(VALU_DEP_4) | instskip(SKIP_1) | instid1(VALU_DEP_3)
	v_dual_sub_f32 v36, v58, v53 :: v_dual_sub_f32 v39, v41, v43
	v_dual_add_f32 v46, v53, v58 :: v_dual_add_f32 v37, v56, v45
	v_fmac_f32_e32 v55, 0xbee1c552, v35
	v_add_f32_e32 v35, v54, v57
	v_add_f32_e32 v41, v43, v41
	v_sub_f32_e32 v43, v45, v56
	v_sub_f32_e32 v45, v57, v54
	v_add_f32_e32 v40, v55, v42
	v_sub_f32_e32 v42, v42, v55
	ds_store_2addr_b64 v1, v[23:24], v[25:26] offset0:160 offset1:212
	ds_store_2addr_b64 v4, v[27:28], v[29:30] offset0:8 offset1:60
	;; [unrolled: 1-line block ×6, first 2 shown]
	ds_store_b64 v200, v[45:46] offset:8320
	global_wb scope:SCOPE_SE
	s_wait_dscnt 0x0
	s_barrier_signal -1
	s_barrier_wait -1
	global_inv scope:SCOPE_SE
	ds_load_2addr_b64 v[5:8], v1 offset0:56 offset1:108
	ds_load_2addr_b64 v[9:12], v2 offset0:88 offset1:140
	;; [unrolled: 1-line block ×3, first 2 shown]
	ds_load_2addr_b64 v[17:20], v177 offset1:52
	ds_load_2addr_b64 v[21:24], v177 offset0:104 offset1:156
	ds_load_2addr_b64 v[25:28], v0 offset0:64 offset1:116
	;; [unrolled: 1-line block ×6, first 2 shown]
	ds_load_b64 v[45:46], v177 offset:8320
	s_wait_dscnt 0xa
	v_mul_f32_e32 v47, v49, v8
	s_wait_dscnt 0x9
	v_dual_mul_f32 v49, v49, v7 :: v_dual_mul_f32 v52, v51, v10
	s_delay_alu instid0(VALU_DEP_2) | instskip(SKIP_1) | instid1(VALU_DEP_3)
	v_fmac_f32_e32 v47, v48, v7
	v_mul_f32_e32 v7, v51, v9
	v_fma_f32 v8, v48, v8, -v49
	s_delay_alu instid0(VALU_DEP_4)
	v_fmac_f32_e32 v52, v50, v9
	s_wait_dscnt 0x8
	v_mul_f32_e32 v9, v69, v13
	v_mul_f32_e32 v48, v69, v14
	v_fma_f32 v10, v50, v10, -v7
	v_dual_mul_f32 v7, v71, v11 :: v_dual_mul_f32 v50, v65, v16
	s_delay_alu instid0(VALU_DEP_4) | instskip(NEXT) | instid1(VALU_DEP_4)
	v_fma_f32 v14, v68, v14, -v9
	v_dual_mul_f32 v9, v65, v15 :: v_dual_fmac_f32 v48, v68, v13
	s_delay_alu instid0(VALU_DEP_3) | instskip(NEXT) | instid1(VALU_DEP_4)
	v_fma_f32 v51, v70, v12, -v7
	v_dual_mul_f32 v49, v71, v12 :: v_dual_fmac_f32 v50, v64, v15
	s_wait_dscnt 0x7
	v_dual_add_f32 v12, v8, v10 :: v_dual_add_f32 v15, v18, v8
	s_wait_dscnt 0x5
	v_mul_f32_e32 v7, v67, v25
	v_fma_f32 v54, v64, v16, -v9
	v_sub_f32_e32 v13, v8, v10
	v_fma_f32 v8, -0.5, v12, v18
	v_add_f32_e32 v10, v15, v10
	s_wait_dscnt 0x4
	v_dual_sub_f32 v16, v47, v52 :: v_dual_mul_f32 v55, v81, v30
	v_mul_f32_e32 v56, v83, v28
	s_wait_dscnt 0x2
	v_dual_mul_f32 v57, v77, v32 :: v_dual_mul_f32 v58, v79, v38
	s_delay_alu instid0(VALU_DEP_3)
	v_fmamk_f32 v12, v16, 0x3f5db3d7, v8
	v_fmac_f32_e32 v8, 0xbf5db3d7, v16
	v_add_f32_e32 v16, v14, v51
	v_fmac_f32_e32 v49, v70, v11
	v_mul_f32_e32 v53, v67, v26
	v_fma_f32 v26, v66, v26, -v7
	v_mul_f32_e32 v9, v81, v29
	v_fmac_f32_e32 v55, v80, v29
	s_wait_dscnt 0x1
	v_mul_f32_e32 v59, v73, v42
	v_dual_mul_f32 v65, v61, v44 :: v_dual_fmac_f32 v58, v78, v37
	v_fma_f32 v29, v80, v30, -v9
	v_dual_mul_f32 v9, v77, v31 :: v_dual_add_f32 v30, v22, v54
	v_mul_f32_e32 v7, v83, v27
	v_dual_fmac_f32 v59, v72, v41 :: v_dual_mul_f32 v64, v75, v40
	s_delay_alu instid0(VALU_DEP_3) | instskip(SKIP_1) | instid1(VALU_DEP_4)
	v_fma_f32 v32, v76, v32, -v9
	v_mul_f32_e32 v9, v73, v41
	v_fma_f32 v28, v82, v28, -v7
	v_mul_f32_e32 v7, v79, v37
	v_fmac_f32_e32 v65, v60, v43
	v_add_f32_e32 v11, v17, v47
	v_fma_f32 v41, v72, v42, -v9
	v_fmac_f32_e32 v56, v82, v27
	v_fma_f32 v38, v78, v38, -v7
	v_mul_f32_e32 v7, v75, v39
	v_mul_f32_e32 v9, v61, v43
	s_wait_dscnt 0x0
	v_mul_f32_e32 v61, v63, v46
	v_sub_f32_e32 v27, v54, v26
	v_add_f32_e32 v42, v32, v38
	v_fma_f32 v40, v74, v40, -v7
	v_mul_f32_e32 v7, v63, v45
	v_fma_f32 v43, v60, v44, -v9
	v_add_f32_e32 v9, v47, v52
	v_fmac_f32_e32 v61, v62, v45
	v_add_f32_e32 v15, v19, v48
	v_fma_f32 v44, v62, v46, -v7
	v_sub_f32_e32 v46, v41, v40
	v_fma_f32 v7, -0.5, v9, v17
	v_add_f32_e32 v9, v11, v52
	v_dual_sub_f32 v17, v14, v51 :: v_dual_add_f32 v14, v20, v14
	s_delay_alu instid0(VALU_DEP_3)
	v_dual_fmac_f32 v20, -0.5, v16 :: v_dual_fmamk_f32 v11, v13, 0xbf5db3d7, v7
	v_fmac_f32_e32 v7, 0x3f5db3d7, v13
	v_add_f32_e32 v13, v48, v49
	v_sub_f32_e32 v18, v48, v49
	v_dual_sub_f32 v48, v43, v44 :: v_dual_fmac_f32 v53, v66, v25
	v_add_f32_e32 v25, v21, v50
	s_delay_alu instid0(VALU_DEP_4) | instskip(NEXT) | instid1(VALU_DEP_4)
	v_fma_f32 v19, -0.5, v13, v19
	v_dual_add_f32 v13, v15, v49 :: v_dual_fmamk_f32 v16, v18, 0x3f5db3d7, v20
	v_fmac_f32_e32 v20, 0xbf5db3d7, v18
	s_delay_alu instid0(VALU_DEP_3) | instskip(SKIP_3) | instid1(VALU_DEP_4)
	v_dual_add_f32 v18, v54, v26 :: v_dual_fmamk_f32 v15, v17, 0xbf5db3d7, v19
	v_fmac_f32_e32 v19, 0x3f5db3d7, v17
	v_add_f32_e32 v17, v50, v53
	v_sub_f32_e32 v37, v29, v28
	v_fma_f32 v18, -0.5, v18, v22
	v_add_f32_e32 v22, v30, v26
	v_add_f32_e32 v30, v23, v55
	v_fma_f32 v17, -0.5, v17, v21
	v_dual_add_f32 v21, v25, v53 :: v_dual_fmac_f32 v64, v74, v39
	v_sub_f32_e32 v45, v32, v38
	v_add_f32_e32 v49, v6, v43
	s_delay_alu instid0(VALU_DEP_4) | instskip(SKIP_2) | instid1(VALU_DEP_1)
	v_fmamk_f32 v25, v27, 0xbf5db3d7, v17
	v_fmac_f32_e32 v17, 0x3f5db3d7, v27
	v_dual_add_f32 v27, v55, v56 :: v_dual_add_f32 v14, v14, v51
	v_fma_f32 v23, -0.5, v27, v23
	v_dual_add_f32 v27, v30, v56 :: v_dual_add_f32 v30, v24, v29
	v_fmac_f32_e32 v57, v76, v31
	v_sub_f32_e32 v31, v50, v53
	s_delay_alu instid0(VALU_DEP_1) | instskip(SKIP_3) | instid1(VALU_DEP_3)
	v_fmamk_f32 v26, v31, 0x3f5db3d7, v18
	v_dual_fmac_f32 v18, 0xbf5db3d7, v31 :: v_dual_add_f32 v31, v29, v28
	v_fmamk_f32 v29, v37, 0xbf5db3d7, v23
	v_dual_fmac_f32 v23, 0x3f5db3d7, v37 :: v_dual_add_f32 v28, v30, v28
	v_dual_add_f32 v37, v57, v58 :: v_dual_fmac_f32 v24, -0.5, v31
	v_sub_f32_e32 v31, v55, v56
	s_delay_alu instid0(VALU_DEP_1) | instskip(SKIP_1) | instid1(VALU_DEP_4)
	v_dual_add_f32 v39, v33, v57 :: v_dual_fmamk_f32 v30, v31, 0x3f5db3d7, v24
	v_fmac_f32_e32 v24, 0xbf5db3d7, v31
	v_fma_f32 v31, -0.5, v37, v33
	s_delay_alu instid0(VALU_DEP_3) | instskip(SKIP_4) | instid1(VALU_DEP_4)
	v_add_f32_e32 v33, v39, v58
	v_add_f32_e32 v39, v34, v32
	v_fma_f32 v32, -0.5, v42, v34
	v_sub_f32_e32 v42, v57, v58
	v_fmamk_f32 v37, v45, 0xbf5db3d7, v31
	v_dual_fmac_f32 v31, 0x3f5db3d7, v45 :: v_dual_add_f32 v34, v39, v38
	v_add_f32_e32 v39, v59, v64
	s_delay_alu instid0(VALU_DEP_4) | instskip(SKIP_2) | instid1(VALU_DEP_4)
	v_dual_add_f32 v45, v35, v59 :: v_dual_fmamk_f32 v38, v42, 0x3f5db3d7, v32
	v_fmac_f32_e32 v32, 0xbf5db3d7, v42
	v_add_f32_e32 v42, v41, v40
	v_fma_f32 v35, -0.5, v39, v35
	s_delay_alu instid0(VALU_DEP_4) | instskip(SKIP_1) | instid1(VALU_DEP_4)
	v_add_f32_e32 v39, v45, v64
	v_add_f32_e32 v45, v36, v41
	v_dual_sub_f32 v47, v59, v64 :: v_dual_fmac_f32 v36, -0.5, v42
	s_delay_alu instid0(VALU_DEP_4) | instskip(NEXT) | instid1(VALU_DEP_3)
	v_fmamk_f32 v41, v46, 0xbf5db3d7, v35
	v_dual_fmac_f32 v35, 0x3f5db3d7, v46 :: v_dual_add_f32 v40, v45, v40
	v_dual_add_f32 v45, v65, v61 :: v_dual_add_f32 v46, v43, v44
	s_delay_alu instid0(VALU_DEP_4) | instskip(SKIP_1) | instid1(VALU_DEP_3)
	v_fmamk_f32 v42, v47, 0x3f5db3d7, v36
	v_dual_fmac_f32 v36, 0xbf5db3d7, v47 :: v_dual_add_f32 v47, v5, v65
	v_fma_f32 v5, -0.5, v45, v5
	s_delay_alu instid0(VALU_DEP_4) | instskip(SKIP_1) | instid1(VALU_DEP_4)
	v_fmac_f32_e32 v6, -0.5, v46
	v_sub_f32_e32 v50, v65, v61
	v_dual_add_f32 v44, v49, v44 :: v_dual_add_f32 v43, v47, v61
	s_delay_alu instid0(VALU_DEP_4) | instskip(NEXT) | instid1(VALU_DEP_3)
	v_fmamk_f32 v45, v48, 0xbf5db3d7, v5
	v_dual_fmac_f32 v5, 0x3f5db3d7, v48 :: v_dual_fmamk_f32 v46, v50, 0x3f5db3d7, v6
	v_fmac_f32_e32 v6, 0xbf5db3d7, v50
	ds_store_b64 v177, v[11:12] offset:2912
	ds_store_b64 v177, v[7:8] offset:5824
	ds_store_2addr_b64 v177, v[9:10], v[13:14] offset1:52
	ds_store_2addr_b64 v1, v[15:16], v[25:26] offset0:160 offset1:212
	ds_store_2addr_b64 v0, v[19:20], v[17:18] offset0:12 offset1:64
	;; [unrolled: 1-line block ×3, first 2 shown]
	ds_store_b64 v177, v[23:24] offset:7072
	ds_store_2addr_b64 v4, v[29:30], v[37:38] offset0:8 offset1:60
	ds_store_2addr_b64 v3, v[33:34], v[39:40] offset0:80 offset1:132
	;; [unrolled: 1-line block ×4, first 2 shown]
	ds_store_b64 v177, v[43:44] offset:2496
	ds_store_b64 v177, v[5:6] offset:8320
	global_wb scope:SCOPE_SE
	s_wait_dscnt 0x0
	s_barrier_signal -1
	s_barrier_wait -1
	global_inv scope:SCOPE_SE
	ds_load_2addr_b64 v[5:8], v177 offset1:52
	ds_load_2addr_b64 v[9:12], v4 offset0:34 offset1:86
	ds_load_2addr_b64 v[13:16], v177 offset0:104 offset1:156
	v_mad_co_u64_u32 v[37:38], null, s4, v178, 0
	s_wait_dscnt 0x2
	v_mul_f32_e32 v17, v172, v6
	s_wait_dscnt 0x1
	v_mul_f32_e32 v21, v162, v10
	v_mul_f32_e32 v23, v170, v7
	s_wait_dscnt 0x0
	v_mul_f32_e32 v41, v156, v16
	v_fmac_f32_e32 v17, v171, v5
	v_mul_f32_e32 v5, v172, v5
	v_fmac_f32_e32 v21, v161, v9
	s_delay_alu instid0(VALU_DEP_4) | instskip(NEXT) | instid1(VALU_DEP_4)
	v_fmac_f32_e32 v41, v155, v15
	v_cvt_f64_f32_e32 v[17:18], v17
	s_delay_alu instid0(VALU_DEP_4)
	v_fma_f32 v5, v171, v6, -v5
	v_mul_f32_e32 v6, v162, v9
	v_mul_f32_e32 v9, v170, v8
	v_cvt_f64_f32_e32 v[21:22], v21
	v_cvt_f64_f32_e32 v[41:42], v41
	;; [unrolled: 1-line block ×3, first 2 shown]
	v_fma_f32 v5, v161, v10, -v6
	v_fma_f32 v6, v169, v8, -v23
	v_mul_f32_e32 v8, v166, v11
	v_fmac_f32_e32 v9, v169, v7
	v_mul_f32_e32 v7, v166, v12
	v_cvt_f64_f32_e32 v[23:24], v5
	v_cvt_f64_f32_e32 v[27:28], v6
	v_fma_f32 v5, v165, v12, -v8
	v_mul_f32_e32 v6, v168, v14
	v_dual_mul_f32 v8, v168, v13 :: v_dual_fmac_f32 v7, v165, v11
	v_cvt_f64_f32_e32 v[25:26], v9
	s_delay_alu instid0(VALU_DEP_4) | instskip(NEXT) | instid1(VALU_DEP_4)
	v_cvt_f64_f32_e32 v[31:32], v5
	v_fmac_f32_e32 v6, v167, v13
	s_delay_alu instid0(VALU_DEP_4) | instskip(SKIP_2) | instid1(VALU_DEP_4)
	v_fma_f32 v5, v167, v14, -v8
	v_cvt_f64_f32_e32 v[29:30], v7
	v_mad_co_u64_u32 v[12:13], null, s6, v154, 0
	v_cvt_f64_f32_e32 v[33:34], v6
	s_delay_alu instid0(VALU_DEP_4) | instskip(SKIP_2) | instid1(VALU_DEP_1)
	v_cvt_f64_f32_e32 v[35:36], v5
	ds_load_2addr_b64 v[4:7], v4 offset0:138 offset1:190
	v_mov_b32_e32 v8, v13
	v_mad_co_u64_u32 v[8:9], null, s7, v154, v[8:9]
	v_mov_b32_e32 v9, v38
	s_wait_alu 0xfffe
	v_mul_f64_e32 v[17:18], s[2:3], v[17:18]
	v_mul_f64_e32 v[21:22], s[2:3], v[21:22]
	s_delay_alu instid0(VALU_DEP_3)
	v_mad_co_u64_u32 v[38:39], null, s5, v178, v[9:10]
	v_mov_b32_e32 v13, v8
	ds_load_2addr_b64 v[8:11], v3 offset0:80 offset1:132
	s_wait_dscnt 0x1
	v_mul_f32_e32 v3, v160, v4
	v_mul_f32_e32 v14, v160, v5
	v_mul_f64_e32 v[19:20], s[2:3], v[19:20]
	v_mul_f64_e32 v[23:24], s[2:3], v[23:24]
	;; [unrolled: 1-line block ×3, first 2 shown]
	v_fma_f32 v5, v159, v5, -v3
	v_fmac_f32_e32 v14, v159, v4
	v_lshlrev_b64_e32 v[12:13], 3, v[12:13]
	v_mul_f64_e32 v[25:26], s[2:3], v[25:26]
	v_mul_f64_e32 v[31:32], s[2:3], v[31:32]
	v_cvt_f64_f32_e32 v[39:40], v5
	v_mul_f32_e32 v5, v156, v15
	v_mul_f64_e32 v[29:30], s[2:3], v[29:30]
	v_mul_f32_e32 v15, v158, v6
	v_mul_f64_e32 v[3:4], s[2:3], v[33:34]
	v_mul_f64_e32 v[33:34], s[2:3], v[35:36]
	v_cvt_f64_f32_e32 v[35:36], v14
	v_mul_f32_e32 v14, v158, v7
	v_fma_f32 v5, v155, v16, -v5
	s_wait_dscnt 0x0
	v_mul_f32_e32 v44, v164, v8
	v_mul_f32_e32 v43, v164, v9
	v_fma_f32 v15, v157, v7, -v15
	v_fmac_f32_e32 v14, v157, v6
	v_cvt_f64_f32_e32 v[5:6], v5
	v_fma_f32 v9, v163, v9, -v44
	v_fmac_f32_e32 v43, v163, v8
	s_delay_alu instid0(VALU_DEP_4) | instskip(SKIP_1) | instid1(VALU_DEP_4)
	v_cvt_f64_f32_e32 v[7:8], v14
	v_cvt_f64_f32_e32 v[14:15], v15
	;; [unrolled: 1-line block ×3, first 2 shown]
	s_delay_alu instid0(VALU_DEP_4)
	v_cvt_f64_f32_e32 v[43:44], v43
	v_cvt_f32_f64_e32 v16, v[17:18]
	v_cvt_f32_f64_e32 v18, v[21:22]
	v_add_co_u32 v9, s0, s8, v12
	s_wait_alu 0xf1ff
	v_add_co_ci_u32_e64 v47, s0, s9, v13, s0
	v_lshlrev_b64_e32 v[12:13], 3, v[37:38]
	v_cvt_f32_f64_e32 v17, v[19:20]
	v_cvt_f32_f64_e32 v19, v[23:24]
	v_cvt_f32_f64_e32 v21, v[27:28]
	s_movk_i32 s8, 0xfe12
	s_mov_b32 s9, -1
	v_add_co_u32 v12, s0, v9, v12
	v_cvt_f32_f64_e32 v20, v[25:26]
	v_cvt_f32_f64_e32 v23, v[31:32]
	s_wait_alu 0xf1ff
	v_add_co_ci_u32_e64 v13, s0, v47, v13, s0
	v_cvt_f32_f64_e32 v22, v[29:30]
	s_mul_u64 s[0:1], s[4:5], 0x222
	s_wait_alu 0xfffe
	s_mul_u64 s[4:5], s[4:5], s[8:9]
	v_cvt_f32_f64_e32 v24, v[3:4]
	v_cvt_f32_f64_e32 v25, v[33:34]
	s_lshl_b64 s[6:7], s[0:1], 3
	v_mul_f64_e32 v[26:27], s[2:3], v[35:36]
	v_mul_f64_e32 v[30:31], s[2:3], v[41:42]
	s_wait_alu 0xfffe
	s_lshl_b64 s[4:5], s[4:5], 3
	v_mul_f64_e32 v[28:29], s[2:3], v[39:40]
	v_mul_f64_e32 v[32:33], s[2:3], v[5:6]
	v_add_co_u32 v6, s0, v12, s6
	ds_load_2addr_b64 v[2:5], v2 offset0:114 offset1:166
	v_mul_f64_e32 v[34:35], s[2:3], v[7:8]
	v_mul_f64_e32 v[14:15], s[2:3], v[14:15]
	s_wait_alu 0xf1ff
	v_add_co_ci_u32_e64 v7, s0, s7, v13, s0
	v_mul_f64_e32 v[38:39], s[2:3], v[45:46]
	s_wait_alu 0xfffe
	v_add_co_u32 v8, s0, v6, s4
	s_wait_alu 0xf1ff
	v_add_co_ci_u32_e64 v9, s0, s5, v7, s0
	v_mul_f64_e32 v[36:37], s[2:3], v[43:44]
	s_delay_alu instid0(VALU_DEP_3) | instskip(SKIP_1) | instid1(VALU_DEP_3)
	v_add_co_u32 v40, s0, v8, s6
	s_wait_alu 0xf1ff
	v_add_co_ci_u32_e64 v41, s0, s7, v9, s0
	s_delay_alu instid0(VALU_DEP_2) | instskip(SKIP_1) | instid1(VALU_DEP_2)
	v_add_co_u32 v42, s0, v40, s4
	s_wait_alu 0xf1ff
	v_add_co_ci_u32_e64 v43, s0, s5, v41, s0
	s_clause 0x4
	global_store_b64 v[12:13], v[16:17], off
	global_store_b64 v[6:7], v[18:19], off
	;; [unrolled: 1-line block ×5, first 2 shown]
	ds_load_2addr_b64 v[6:9], v1 offset0:56 offset1:108
	s_wait_dscnt 0x1
	v_mul_f32_e32 v12, v147, v3
	v_dual_mul_f32 v13, v147, v2 :: v_dual_mul_f32 v16, v145, v5
	v_mul_f32_e32 v17, v145, v4
	v_cvt_f32_f64_e32 v20, v[26:27]
	s_delay_alu instid0(VALU_DEP_4) | instskip(NEXT) | instid1(VALU_DEP_4)
	v_fmac_f32_e32 v12, v146, v2
	v_fma_f32 v2, v146, v3, -v13
	v_dual_mul_f32 v3, v149, v11 :: v_dual_fmac_f32 v16, v144, v4
	v_fma_f32 v4, v144, v5, -v17
	v_cvt_f32_f64_e32 v25, v[32:33]
	s_delay_alu instid0(VALU_DEP_4)
	v_cvt_f64_f32_e32 v[32:33], v2
	v_mul_f32_e32 v2, v149, v10
	v_fmac_f32_e32 v3, v148, v10
	v_cvt_f32_f64_e32 v24, v[30:31]
	v_cvt_f32_f64_e32 v27, v[14:15]
	v_cvt_f64_f32_e32 v[30:31], v12
	v_fma_f32 v2, v148, v11, -v2
	ds_load_2addr_b64 v[12:15], v0 offset0:90 offset1:142
	s_wait_dscnt 0x1
	v_mul_f32_e32 v18, v133, v7
	v_cvt_f32_f64_e32 v21, v[28:29]
	v_cvt_f32_f64_e32 v26, v[34:35]
	;; [unrolled: 1-line block ×3, first 2 shown]
	v_cvt_f64_f32_e32 v[10:11], v3
	v_cvt_f64_f32_e32 v[34:35], v2
	;; [unrolled: 1-line block ×3, first 2 shown]
	ds_load_2addr_b64 v[1:4], v1 offset0:160 offset1:212
	v_fmac_f32_e32 v18, v132, v6
	v_cvt_f32_f64_e32 v28, v[36:37]
	v_cvt_f64_f32_e32 v[36:37], v16
	v_add_co_u32 v22, s0, v42, s6
	s_delay_alu instid0(VALU_DEP_4)
	v_cvt_f64_f32_e32 v[40:41], v18
	ds_load_2addr_b64 v[16:19], v0 offset0:194 offset1:246
	v_mul_f32_e32 v0, v133, v6
	v_mul_f32_e32 v6, v137, v8
	s_wait_alu 0xf1ff
	v_add_co_ci_u32_e64 v23, s0, s7, v43, s0
	s_wait_dscnt 0x2
	v_mul_f32_e32 v42, v143, v13
	v_mul_f32_e32 v5, v143, v12
	;; [unrolled: 1-line block ×3, first 2 shown]
	v_fma_f32 v0, v132, v7, -v0
	v_fma_f32 v9, v136, v9, -v6
	v_fmac_f32_e32 v42, v142, v12
	v_fma_f32 v12, v142, v13, -v5
	v_fmac_f32_e32 v43, v136, v8
	s_wait_dscnt 0x1
	v_mul_f32_e32 v47, v139, v1
	v_cvt_f64_f32_e32 v[5:6], v0
	v_cvt_f64_f32_e32 v[44:45], v9
	v_mul_f32_e32 v9, v141, v14
	v_mul_f32_e32 v46, v139, v2
	v_fma_f32 v2, v138, v2, -v47
	v_cvt_f64_f32_e32 v[7:8], v42
	s_wait_dscnt 0x0
	v_mul_f32_e32 v52, v153, v19
	v_cvt_f64_f32_e32 v[12:13], v12
	v_mul_f32_e32 v0, v141, v15
	v_mul_f32_e32 v50, v135, v17
	v_fma_f32 v9, v140, v15, -v9
	v_cvt_f64_f32_e32 v[48:49], v2
	v_mul_f32_e32 v2, v135, v16
	v_fmac_f32_e32 v0, v140, v14
	v_fmac_f32_e32 v50, v134, v16
	v_cvt_f64_f32_e32 v[14:15], v9
	v_mul_f32_e32 v9, v151, v4
	v_dual_mul_f32 v16, v151, v3 :: v_dual_mul_f32 v53, v153, v18
	v_fmac_f32_e32 v46, v138, v1
	v_fma_f32 v2, v134, v17, -v2
	s_delay_alu instid0(VALU_DEP_4) | instskip(NEXT) | instid1(VALU_DEP_4)
	v_fmac_f32_e32 v9, v150, v3
	v_fma_f32 v4, v150, v4, -v16
	v_fmac_f32_e32 v52, v152, v18
	v_fma_f32 v54, v152, v19, -v53
	v_cvt_f64_f32_e32 v[42:43], v43
	v_cvt_f64_f32_e32 v[0:1], v0
	;; [unrolled: 1-line block ×9, first 2 shown]
	v_mul_f64_e32 v[30:31], s[2:3], v[30:31]
	v_mul_f64_e32 v[32:33], s[2:3], v[32:33]
	;; [unrolled: 1-line block ×8, first 2 shown]
	v_add_co_u32 v56, s0, v22, s4
	s_wait_alu 0xf1ff
	v_add_co_ci_u32_e64 v57, s0, s5, v23, s0
	v_mul_f64_e32 v[6:7], s[2:3], v[7:8]
	v_mul_f64_e32 v[11:12], s[2:3], v[12:13]
	v_add_co_u32 v58, s0, v56, s6
	s_wait_alu 0xf1ff
	v_add_co_ci_u32_e64 v59, s0, s7, v57, s0
	s_delay_alu instid0(VALU_DEP_2) | instskip(SKIP_1) | instid1(VALU_DEP_2)
	v_add_co_u32 v60, s0, v58, s4
	s_wait_alu 0xf1ff
	v_add_co_ci_u32_e64 v61, s0, s5, v59, s0
	global_store_b64 v[22:23], v[20:21], off
	global_store_b64 v[56:57], v[24:25], off
	;; [unrolled: 1-line block ×4, first 2 shown]
	v_mul_f64_e32 v[22:23], s[2:3], v[44:45]
	v_mul_f64_e32 v[13:14], s[2:3], v[14:15]
	;; [unrolled: 1-line block ×12, first 2 shown]
	v_cvt_f32_f64_e32 v30, v[30:31]
	v_cvt_f32_f64_e32 v31, v[32:33]
	;; [unrolled: 1-line block ×4, first 2 shown]
	v_add_co_u32 v32, s0, v60, s6
	s_wait_alu 0xf1ff
	v_add_co_ci_u32_e64 v33, s0, s7, v61, s0
	v_cvt_f32_f64_e32 v36, v[36:37]
	v_cvt_f32_f64_e32 v37, v[38:39]
	;; [unrolled: 1-line block ×4, first 2 shown]
	v_add_co_u32 v34, s0, v32, s4
	s_wait_alu 0xf1ff
	v_add_co_ci_u32_e64 v35, s0, s5, v33, s0
	v_cvt_f32_f64_e32 v4, v[6:7]
	v_cvt_f32_f64_e32 v5, v[11:12]
	v_add_co_u32 v38, s0, v34, s6
	s_wait_alu 0xf1ff
	v_add_co_ci_u32_e64 v39, s0, s7, v35, s0
	s_delay_alu instid0(VALU_DEP_2) | instskip(SKIP_1) | instid1(VALU_DEP_2)
	v_add_co_u32 v6, s0, v38, s4
	s_wait_alu 0xf1ff
	v_add_co_ci_u32_e64 v7, s0, s5, v39, s0
	v_cvt_f32_f64_e32 v11, v[22:23]
	v_cvt_f32_f64_e32 v13, v[13:14]
	;; [unrolled: 1-line block ×6, first 2 shown]
	v_add_co_u32 v0, s0, v6, s6
	v_cvt_f32_f64_e32 v21, v[28:29]
	v_cvt_f32_f64_e32 v22, v[2:3]
	;; [unrolled: 1-line block ×4, first 2 shown]
	s_wait_alu 0xf1ff
	v_add_co_ci_u32_e64 v1, s0, s7, v7, s0
	v_cvt_f32_f64_e32 v14, v[42:43]
	v_cvt_f32_f64_e32 v15, v[44:45]
	v_add_co_u32 v16, s0, v0, s4
	s_wait_alu 0xf1ff
	v_add_co_ci_u32_e64 v17, s0, s5, v1, s0
	global_store_b64 v[32:33], v[30:31], off
	global_store_b64 v[34:35], v[8:9], off
	v_add_co_u32 v8, s0, v16, s6
	s_wait_alu 0xf1ff
	v_add_co_ci_u32_e64 v9, s0, s7, v17, s0
	global_store_b64 v[38:39], v[36:37], off
	v_add_co_u32 v23, s0, v8, s4
	s_wait_alu 0xf1ff
	v_add_co_ci_u32_e64 v24, s0, s5, v9, s0
	;; [unrolled: 4-line block ×5, first 2 shown]
	global_store_b64 v[8:9], v[12:13], off
	global_store_b64 v[23:24], v[19:20], off
	;; [unrolled: 1-line block ×5, first 2 shown]
	s_and_b32 exec_lo, exec_lo, vcc_lo
	s_cbranch_execz .LBB0_31
; %bb.30:
	global_load_b64 v[2:3], v[130:131], off offset:4160
	ds_load_b64 v[4:5], v177 offset:4160
	ds_load_b64 v[6:7], v177 offset:8528
	v_add_co_u32 v0, vcc_lo, v0, s4
	s_wait_alu 0xfffd
	v_add_co_ci_u32_e32 v1, vcc_lo, s5, v1, vcc_lo
	s_wait_loadcnt_dscnt 0x1
	v_mul_f32_e32 v8, v5, v3
	v_mul_f32_e32 v3, v4, v3
	s_delay_alu instid0(VALU_DEP_2) | instskip(NEXT) | instid1(VALU_DEP_2)
	v_fmac_f32_e32 v8, v4, v2
	v_fma_f32 v4, v2, v5, -v3
	s_delay_alu instid0(VALU_DEP_2) | instskip(NEXT) | instid1(VALU_DEP_2)
	v_cvt_f64_f32_e32 v[2:3], v8
	v_cvt_f64_f32_e32 v[4:5], v4
	s_delay_alu instid0(VALU_DEP_2) | instskip(NEXT) | instid1(VALU_DEP_2)
	v_mul_f64_e32 v[2:3], s[2:3], v[2:3]
	v_mul_f64_e32 v[4:5], s[2:3], v[4:5]
	s_delay_alu instid0(VALU_DEP_2) | instskip(NEXT) | instid1(VALU_DEP_2)
	v_cvt_f32_f64_e32 v2, v[2:3]
	v_cvt_f32_f64_e32 v3, v[4:5]
	global_store_b64 v[0:1], v[2:3], off
	global_load_b64 v[2:3], v[130:131], off offset:8528
	v_add_co_u32 v0, vcc_lo, v0, s6
	s_wait_alu 0xfffd
	v_add_co_ci_u32_e32 v1, vcc_lo, s7, v1, vcc_lo
	s_wait_loadcnt_dscnt 0x0
	v_mul_f32_e32 v4, v7, v3
	v_mul_f32_e32 v3, v6, v3
	s_delay_alu instid0(VALU_DEP_2) | instskip(NEXT) | instid1(VALU_DEP_2)
	v_fmac_f32_e32 v4, v6, v2
	v_fma_f32 v5, v2, v7, -v3
	s_delay_alu instid0(VALU_DEP_2) | instskip(NEXT) | instid1(VALU_DEP_2)
	v_cvt_f64_f32_e32 v[2:3], v4
	v_cvt_f64_f32_e32 v[4:5], v5
	s_delay_alu instid0(VALU_DEP_2) | instskip(NEXT) | instid1(VALU_DEP_2)
	v_mul_f64_e32 v[2:3], s[2:3], v[2:3]
	v_mul_f64_e32 v[4:5], s[2:3], v[4:5]
	s_delay_alu instid0(VALU_DEP_2) | instskip(NEXT) | instid1(VALU_DEP_2)
	v_cvt_f32_f64_e32 v2, v[2:3]
	v_cvt_f32_f64_e32 v3, v[4:5]
	global_store_b64 v[0:1], v[2:3], off
.LBB0_31:
	s_nop 0
	s_sendmsg sendmsg(MSG_DEALLOC_VGPRS)
	s_endpgm
	.section	.rodata,"a",@progbits
	.p2align	6, 0x0
	.amdhsa_kernel bluestein_single_back_len1092_dim1_sp_op_CI_CI
		.amdhsa_group_segment_fixed_size 8736
		.amdhsa_private_segment_fixed_size 0
		.amdhsa_kernarg_size 104
		.amdhsa_user_sgpr_count 2
		.amdhsa_user_sgpr_dispatch_ptr 0
		.amdhsa_user_sgpr_queue_ptr 0
		.amdhsa_user_sgpr_kernarg_segment_ptr 1
		.amdhsa_user_sgpr_dispatch_id 0
		.amdhsa_user_sgpr_private_segment_size 0
		.amdhsa_wavefront_size32 1
		.amdhsa_uses_dynamic_stack 0
		.amdhsa_enable_private_segment 0
		.amdhsa_system_sgpr_workgroup_id_x 1
		.amdhsa_system_sgpr_workgroup_id_y 0
		.amdhsa_system_sgpr_workgroup_id_z 0
		.amdhsa_system_sgpr_workgroup_info 0
		.amdhsa_system_vgpr_workitem_id 0
		.amdhsa_next_free_vgpr 255
		.amdhsa_next_free_sgpr 18
		.amdhsa_reserve_vcc 1
		.amdhsa_float_round_mode_32 0
		.amdhsa_float_round_mode_16_64 0
		.amdhsa_float_denorm_mode_32 3
		.amdhsa_float_denorm_mode_16_64 3
		.amdhsa_fp16_overflow 0
		.amdhsa_workgroup_processor_mode 1
		.amdhsa_memory_ordered 1
		.amdhsa_forward_progress 0
		.amdhsa_round_robin_scheduling 0
		.amdhsa_exception_fp_ieee_invalid_op 0
		.amdhsa_exception_fp_denorm_src 0
		.amdhsa_exception_fp_ieee_div_zero 0
		.amdhsa_exception_fp_ieee_overflow 0
		.amdhsa_exception_fp_ieee_underflow 0
		.amdhsa_exception_fp_ieee_inexact 0
		.amdhsa_exception_int_div_zero 0
	.end_amdhsa_kernel
	.text
.Lfunc_end0:
	.size	bluestein_single_back_len1092_dim1_sp_op_CI_CI, .Lfunc_end0-bluestein_single_back_len1092_dim1_sp_op_CI_CI
                                        ; -- End function
	.section	.AMDGPU.csdata,"",@progbits
; Kernel info:
; codeLenInByte = 29276
; NumSgprs: 20
; NumVgprs: 255
; ScratchSize: 0
; MemoryBound: 0
; FloatMode: 240
; IeeeMode: 1
; LDSByteSize: 8736 bytes/workgroup (compile time only)
; SGPRBlocks: 2
; VGPRBlocks: 31
; NumSGPRsForWavesPerEU: 20
; NumVGPRsForWavesPerEU: 255
; Occupancy: 5
; WaveLimiterHint : 1
; COMPUTE_PGM_RSRC2:SCRATCH_EN: 0
; COMPUTE_PGM_RSRC2:USER_SGPR: 2
; COMPUTE_PGM_RSRC2:TRAP_HANDLER: 0
; COMPUTE_PGM_RSRC2:TGID_X_EN: 1
; COMPUTE_PGM_RSRC2:TGID_Y_EN: 0
; COMPUTE_PGM_RSRC2:TGID_Z_EN: 0
; COMPUTE_PGM_RSRC2:TIDIG_COMP_CNT: 0
	.text
	.p2alignl 7, 3214868480
	.fill 96, 4, 3214868480
	.type	__hip_cuid_794e2f82749cfbd7,@object ; @__hip_cuid_794e2f82749cfbd7
	.section	.bss,"aw",@nobits
	.globl	__hip_cuid_794e2f82749cfbd7
__hip_cuid_794e2f82749cfbd7:
	.byte	0                               ; 0x0
	.size	__hip_cuid_794e2f82749cfbd7, 1

	.ident	"AMD clang version 19.0.0git (https://github.com/RadeonOpenCompute/llvm-project roc-6.4.0 25133 c7fe45cf4b819c5991fe208aaa96edf142730f1d)"
	.section	".note.GNU-stack","",@progbits
	.addrsig
	.addrsig_sym __hip_cuid_794e2f82749cfbd7
	.amdgpu_metadata
---
amdhsa.kernels:
  - .args:
      - .actual_access:  read_only
        .address_space:  global
        .offset:         0
        .size:           8
        .value_kind:     global_buffer
      - .actual_access:  read_only
        .address_space:  global
        .offset:         8
        .size:           8
        .value_kind:     global_buffer
      - .actual_access:  read_only
        .address_space:  global
        .offset:         16
        .size:           8
        .value_kind:     global_buffer
      - .actual_access:  read_only
        .address_space:  global
        .offset:         24
        .size:           8
        .value_kind:     global_buffer
      - .actual_access:  read_only
        .address_space:  global
        .offset:         32
        .size:           8
        .value_kind:     global_buffer
      - .offset:         40
        .size:           8
        .value_kind:     by_value
      - .address_space:  global
        .offset:         48
        .size:           8
        .value_kind:     global_buffer
      - .address_space:  global
        .offset:         56
        .size:           8
        .value_kind:     global_buffer
      - .address_space:  global
        .offset:         64
        .size:           8
        .value_kind:     global_buffer
      - .address_space:  global
        .offset:         72
        .size:           8
        .value_kind:     global_buffer
      - .offset:         80
        .size:           4
        .value_kind:     by_value
      - .address_space:  global
        .offset:         88
        .size:           8
        .value_kind:     global_buffer
      - .address_space:  global
        .offset:         96
        .size:           8
        .value_kind:     global_buffer
    .group_segment_fixed_size: 8736
    .kernarg_segment_align: 8
    .kernarg_segment_size: 104
    .language:       OpenCL C
    .language_version:
      - 2
      - 0
    .max_flat_workgroup_size: 52
    .name:           bluestein_single_back_len1092_dim1_sp_op_CI_CI
    .private_segment_fixed_size: 0
    .sgpr_count:     20
    .sgpr_spill_count: 0
    .symbol:         bluestein_single_back_len1092_dim1_sp_op_CI_CI.kd
    .uniform_work_group_size: 1
    .uses_dynamic_stack: false
    .vgpr_count:     255
    .vgpr_spill_count: 0
    .wavefront_size: 32
    .workgroup_processor_mode: 1
amdhsa.target:   amdgcn-amd-amdhsa--gfx1201
amdhsa.version:
  - 1
  - 2
...

	.end_amdgpu_metadata
